;; amdgpu-corpus repo=ROCm/aiter kind=harvested arch=n/a opt=n/a

/root/src/amdgpu-assembly/repos/ROCm__aiter/hsa/gfx950/fmha_v3_fwd/fwd_hd128_fp8_causal_group.co:	file format elf64-amdgpu

Disassembly of section .text:

0000000000003c00 <_ZN5aiter37fmha_fwd_hd128_fp8_causal_group_gfx950E>:
	s_and_b32 s1, s1, 0xffff                                   // 000000003C00: 8601FF01 0000FFFF
	s_mov_b32 s63, s4                                          // 000000003C08: BEBF0004
	s_mov_b32 s64, s2                                          // 000000003C0C: BEC00002
	s_mov_b32 s65, s3                                          // 000000003C10: BEC10003
	s_load_dwordx2 s[4:5], s[0:1], 0x0                         // 000000003C14: C0060100 00000000
	s_load_dwordx2 s[8:9], s[0:1], 0x10                        // 000000003C1C: C0060200 00000010
	s_load_dwordx2 s[12:13], s[0:1], 0x20                      // 000000003C24: C0060300 00000020
	s_load_dwordx2 s[16:17], s[0:1], 0x30                      // 000000003C2C: C0060400 00000030
	s_load_dword s28, s[0:1], 0x50                             // 000000003C34: C0020700 00000050
	s_load_dword s29, s[0:1], 0x60                             // 000000003C3C: C0020740 00000060
	s_load_dword s36, s[0:1], 0x70                             // 000000003C44: C0020900 00000070
	s_load_dword s30, s[0:1], 0x80                             // 000000003C4C: C0020780 00000080
	s_load_dword s31, s[0:1], 0x90                             // 000000003C54: C00207C0 00000090
	s_load_dword s32, s[0:1], 0xa0                             // 000000003C5C: C0020800 000000A0
	s_load_dword s58, s[0:1], 0xb0                             // 000000003C64: C0020E80 000000B0
	s_load_dword s59, s[0:1], 0x110                            // 000000003C6C: C0020EC0 00000110
	s_load_dword s38, s[0:1], 0xc0                             // 000000003C74: C0020980 000000C0
	s_load_dword s52, s[0:1], 0xd0                             // 000000003C7C: C0020D00 000000D0
	s_load_dword s53, s[0:1], 0xe0                             // 000000003C84: C0020D40 000000E0
	s_load_dword s39, s[0:1], 0x150                            // 000000003C8C: C00209C0 00000150
	s_load_dword s54, s[0:1], 0x160                            // 000000003C94: C0020D80 00000160
	s_load_dword s55, s[0:1], 0x170                            // 000000003C9C: C0020DC0 00000170
	s_load_dword s37, s[0:1], 0x180                            // 000000003CA4: C0020940 00000180
	s_load_dword s56, s[0:1], 0x190                            // 000000003CAC: C0020E00 00000190
	s_load_dword s57, s[0:1], 0x1a0                            // 000000003CB4: C0020E40 000001A0
	s_load_dwordx2 s[20:21], s[0:1], 0x200                     // 000000003CBC: C0060500 00000200
	s_load_dwordx2 s[22:23], s[0:1], 0x210                     // 000000003CC4: C0060580 00000210
	s_load_dwordx2 s[24:25], s[0:1], 0x220                     // 000000003CCC: C0060600 00000220
	s_load_dwordx2 s[74:75], s[0:1], 0x1b0                     // 000000003CD4: C0061280 000001B0
	s_load_dwordx2 s[76:77], s[0:1], 0x1c0                     // 000000003CDC: C0061300 000001C0
	s_load_dwordx2 s[78:79], s[0:1], 0x1e0                     // 000000003CE4: C0061380 000001E0
	s_load_dwordx2 s[80:81], s[0:1], 0x1f0                     // 000000003CEC: C0061400 000001F0
	v_lshrrev_b32_e32 v1, 10, v0                               // 000000003CF4: 2002008A
	v_lshrrev_b32_e32 v2, 10, v1                               // 000000003CF8: 2004028A
	v_and_b32_e32 v2, 0x3ff, v2                                // 000000003CFC: 260404FF 000003FF
	v_and_b32_e32 v1, 0x3ff, v1                                // 000000003D04: 260202FF 000003FF
	v_and_b32_e32 v0, 0x3ff, v0                                // 000000003D0C: 260000FF 000003FF
	v_lshrrev_b32_e32 v3, 6, v0                                // 000000003D14: 20060086
	v_and_b32_e32 v0, 63, v0                                   // 000000003D18: 260000BF
	v_readfirstlane_b32 s62, v3                                // 000000003D1C: 7E7C0503
	v_and_b32_e32 v184, 31, v0                                 // 000000003D20: 2770009F
	v_lshrrev_b32_e32 v184, 2, v184                            // 000000003D24: 21717082
	v_lshrrev_b32_e32 v185, 5, v0                              // 000000003D28: 21720085
	v_lshlrev_b32_e32 v185, 5, v185                            // 000000003D2C: 25737285
	v_add_u32_e32 v198, v184, v185                             // 000000003D30: 698D73B8
	v_lshrrev_b32_e32 v184, 4, v0                              // 000000003D34: 21700084
	v_lshlrev_b32_e32 v184, 4, v184                            // 000000003D38: 25717084
	v_lshrrev_b32_e32 v185, 3, v0                              // 000000003D3C: 21720083
	v_and_b32_e32 v185, 1, v185                                // 000000003D40: 27737281
	v_add_u32_e32 v199, v184, v185                             // 000000003D44: 698F73B8
	v_lshrrev_b32_e32 v184, 5, v0                              // 000000003D48: 21700085
	v_lshlrev_b32_e32 v184, 4, v184                            // 000000003D4C: 25717084
	v_and_b32_e32 v185, 31, v0                                 // 000000003D50: 2772009F
	v_lshrrev_b32_e32 v185, 3, v185                            // 000000003D54: 21737283
	v_mul_i32_i24_e32 v185, 0x410, v185                        // 000000003D58: 0D7372FF 00000410
	v_and_b32_e32 v186, 7, v0                                  // 000000003D60: 27740087
	v_lshlrev_b32_e32 v186, 6, v186                            // 000000003D64: 25757486
	v_add3_u32 v200, v184, v185, v186                          // 000000003D68: D1FF00C8 06EB73B8
	v_lshrrev_b32_e32 v184, 5, v0                              // 000000003D70: 21700085
	v_lshlrev_b32_e32 v195, 2, v184                            // 000000003D74: 25877082
	s_mul_i32 s66, s62, 32                                     // 000000003D78: 9242A03E
	v_and_b32_e32 v196, 31, v0                                 // 000000003D7C: 2788009F
	v_add_u32_e32 v196, s66, v196                              // 000000003D80: 69898842
	s_lshr_b32 s66, s62, 1                                     // 000000003D84: 8F42813E
	s_mul_i32 s66, s66, 0x2080                                 // 000000003D88: 9242FF42 00002080
	s_add_u32 s66, s66, 0                                      // 000000003D90: 80428042
	s_and_b32 s67, s62, 1                                      // 000000003D94: 8643813E
	s_lshl_b32 s67, s67, 9                                     // 000000003D98: 8E438943
	s_add_u32 s66, s67, s66                                    // 000000003D9C: 80424243
	v_add_u32_e32 v205, s66, v200                              // 000000003DA0: 699B9042
	v_add_u32_e32 v218, 0x8200, v200                           // 000000003DA4: 69B590FF 00008200
	v_lshrrev_b32_e32 v184, 1, v0                              // 000000003DAC: 21700081
	v_and_b32_e32 v184, 7, v184                                // 000000003DB0: 27717087
	v_and_b32_e32 v185, 1, v184                                // 000000003DB4: 27737081
	v_mul_i32_i24_e32 v185, 0x80, v185                         // 000000003DB8: 0D7372FF 00000080
	v_lshrrev_b32_e32 v184, 1, v184                            // 000000003DC0: 21717081
	v_mul_i32_i24_e32 v184, 0x820, v184                        // 000000003DC4: 0D7170FF 00000820
	v_add_u32_e32 v219, v185, v184                             // 000000003DCC: 69B771B9
	v_and_b32_e32 v184, 1, v0                                  // 000000003DD0: 27700081
	v_mul_i32_i24_e32 v184, 8, v184                            // 000000003DD4: 0D717088
	v_add_u32_e32 v219, v184, v219                             // 000000003DD8: 69B7B7B8
	v_lshrrev_b32_e32 v184, 4, v0                              // 000000003DDC: 21700084
	v_and_b32_e32 v185, 1, v184                                // 000000003DE0: 27737081
	v_mul_i32_i24_e32 v185, 16, v185                           // 000000003DE4: 0D737290
	v_add_u32_e32 v219, v185, v219                             // 000000003DE8: 69B7B7B9
	v_lshrrev_b32_e32 v185, 1, v184                            // 000000003DEC: 21737081
	v_mul_i32_i24_e32 v185, 0x410, v185                        // 000000003DF0: 0D7372FF 00000410
	v_add_u32_e32 v219, v185, v219                             // 000000003DF8: 69B7B7B9
	v_add_u32_e32 v219, 0x10400, v219                          // 000000003DFC: 69B7B6FF 00010400
	s_lshr_b32 s66, s62, 1                                     // 000000003E04: 8F42813E
	s_mul_i32 s66, s66, 4                                      // 000000003E08: 92428442
	s_and_b32 s67, s62, 1                                      // 000000003E0C: 8643813E
	s_add_u32 s66, s66, s67                                    // 000000003E10: 80424342
	s_mul_i32 s71, s66, 0x820                                  // 000000003E14: 9247FF42 00000820
	s_add_u32 s71, 0x8200, s71                                 // 000000003E1C: 804747FF 00008200
	s_and_b32 s67, s62, 3                                      // 000000003E24: 8643833E
	s_mul_i32 s67, s67, 0x1040                                 // 000000003E28: 9243FF43 00001040
	s_add_u32 s72, 0x10400, s67                                // 000000003E30: 804843FF 00010400
	v_mov_b32_e32 v197, 0xff800000                             // 000000003E38: 7F8A02FF FF800000
	s_waitcnt lgkmcnt(0)                                       // 000000003E40: BF8CC07F
	s_lshl_b32 s66, s65, 2                                     // 000000003E44: 8E428241
	s_add_u32 s78, s78, s66                                    // 000000003E48: 804E424E
	s_addc_u32 s79, s79, 0                                     // 000000003E4C: 824F804F
	s_add_u32 s80, s80, s66                                    // 000000003E50: 80504250
	s_addc_u32 s81, s81, 0                                     // 000000003E54: 82518051
	s_add_u32 s74, s74, s66                                    // 000000003E58: 804A424A
	s_addc_u32 s75, s75, 0                                     // 000000003E5C: 824B804B
	s_add_u32 s76, s76, s66                                    // 000000003E60: 804C424C
	s_addc_u32 s77, s77, 0                                     // 000000003E64: 824D804D
	s_load_dword s82, s[78:79], 0x0                            // 000000003E68: C00214A7 00000000
	s_load_dword s83, s[80:81], 0x0                            // 000000003E70: C00214E8 00000000
	s_load_dword s84, s[74:75], 0x0                            // 000000003E78: C0021525 00000000
	s_load_dword s85, s[74:75], 0x4                            // 000000003E80: C0021565 00000004
	s_load_dword s86, s[76:77], 0x0                            // 000000003E88: C00215A6 00000000
	s_load_dword s87, s[76:77], 0x4                            // 000000003E90: C00215E6 00000004
	s_and_b32 s21, s21, 0xffff                                 // 000000003E98: 8615FF15 0000FFFF
	s_load_dword s33, s[20:21], 0x0                            // 000000003EA0: C002084A 00000000
	s_and_b32 s23, s23, 0xffff                                 // 000000003EA8: 8617FF17 0000FFFF
	s_load_dword s34, s[22:23], 0x0                            // 000000003EB0: C002088B 00000000
	s_and_b32 s25, s25, 0xffff                                 // 000000003EB8: 8619FF19 0000FFFF
	s_load_dword s35, s[24:25], 0x0                            // 000000003EC0: C00208CC 00000000
	v_mov_b32_e32 v222, s38                                    // 000000003EC8: 7FBC0226
	v_mov_b32_e32 v223, s39                                    // 000000003ECC: 7FBE0227
	s_mov_b32 s40, 0                                           // 000000003ED0: BEA80080
	s_mov_b32 s41, 0x100                                       // 000000003ED4: BEA900FF 00000100
	s_mov_b32 s42, 0                                           // 000000003EDC: BEAA0080
	s_mov_b32 s44, 0                                           // 000000003EE0: BEAC0080
	s_mov_b32 s45, 0x100                                       // 000000003EE4: BEAD00FF 00000100
	s_mov_b32 s46, 0                                           // 000000003EEC: BEAE0080
	s_mov_b32 s48, -1                                          // 000000003EF0: BEB000C1
	s_mov_b32 s49, 0                                           // 000000003EF4: BEB10080
	s_mov_b32 s51, 1                                           // 000000003EF8: BEB30081
	s_mul_i32 s50, s63, 0x100                                  // 000000003EFC: 9232FF3F 00000100
	s_mov_b32 s43, s59                                         // 000000003F04: BEAB003B
	s_mov_b32 s47, s59                                         // 000000003F08: BEAF003B
	s_waitcnt lgkmcnt(0)                                       // 000000003F0C: BF8CC07F
	s_sub_u32 s29, s85, s84                                    // 000000003F10: 809D5455
	s_sub_u32 s59, s87, s86                                    // 000000003F14: 80BB5657
	s_mov_b32 s43, s59                                         // 000000003F18: BEAB003B
	s_mov_b32 s47, s59                                         // 000000003F1C: BEAF003B
	s_add_u32 s66, s29, 0xff                                   // 000000003F20: 8042FF1D 000000FF
	s_lshr_b32 s66, s66, 8                                     // 000000003F28: 8F428842
	s_add_u32 s66, s66, 1                                      // 000000003F2C: 80428142
	s_lshr_b32 s66, s66, 1                                     // 000000003F30: 8F428142
	s_cmp_lt_u32 s63, s66                                      // 000000003F34: BF0A423F
	s_cbranch_scc1 label_0340                                  // 000000003F38: BF850001
	s_endpgm                                                   // 000000003F3C: BF810000

0000000000003f40 <label_0340>:
	s_sub_i32 s66, s59, s29                                    // 000000003F40: 81C21D3B
	s_add_i32 s66, s66, s50                                    // 000000003F44: 81423242
	s_addk_i32 s66, 0x17f                                      // 000000003F48: B742017F
	s_and_b32 s66, s66, 0xffffff80                             // 000000003F4C: 8642FF42 FFFFFF80
	s_cmp_lt_i32 s66, s59                                      // 000000003F54: BF043B42
	s_cselect_b32 s43, s66, s59                                // 000000003F58: 852B3B42
	v_mov_b32_e32 v184, s28                                    // 000000003F5C: 7F70021C
	v_mul_f32_e32 v184, s33, v184                              // 000000003F60: 0B717021
	v_mul_f32_e64 v184, v184, s34                              // 000000003F64: D10500B8 000045B8
	v_mul_f32_e32 v185, 0x3fb8aa3b, v184                       // 000000003F6C: 0B7370FF 3FB8AA3B
	v_readfirstlane_b32 s28, v184                              // 000000003F74: 7E3805B8
	v_readfirstlane_b32 s26, v185                              // 000000003F78: 7E3405B9
	s_mov_b32 s27, s26                                         // 000000003F7C: BE9B001A
	s_mov_b32 s66, 0                                           // 000000003F80: BEC20080
	s_cmp_ge_u32 s58, 2                                        // 000000003F84: BF09823A
	s_cselect_b32 s67, 1, 0                                    // 000000003F88: 85438081
	s_add_u32 s66, s66, s67                                    // 000000003F8C: 80424342
	s_cmp_ge_u32 s58, 4                                        // 000000003F90: BF09843A
	s_cselect_b32 s67, 1, 0                                    // 000000003F94: 85438081
	s_add_u32 s66, s66, s67                                    // 000000003F98: 80424342
	s_cmp_ge_u32 s58, 8                                        // 000000003F9C: BF09883A
	s_cselect_b32 s67, 1, 0                                    // 000000003FA0: 85438081
	s_add_u32 s66, s66, s67                                    // 000000003FA4: 80424342
	s_cmp_ge_u32 s58, 16                                       // 000000003FA8: BF09903A
	s_cselect_b32 s67, 1, 0                                    // 000000003FAC: 85438081
	s_add_u32 s58, s66, s67                                    // 000000003FB0: 803A4342
	s_mul_i32 s66, s65, s53                                    // 000000003FB4: 92423541
	s_lshr_b32 s67, s64, s58                                   // 000000003FB8: 8F433A40
	s_mul_i32 s67, s67, s52                                    // 000000003FBC: 92433443
	s_add_u32 s12, s12, s66                                    // 000000003FC0: 800C420C
	s_addc_u32 s13, s13, 0                                     // 000000003FC4: 820D800D
	s_add_u32 s12, s12, s67                                    // 000000003FC8: 800C430C
	s_addc_u32 s13, s13, 0                                     // 000000003FCC: 820D800D
	s_mul_i32 s66, s65, s55                                    // 000000003FD0: 92423741
	s_lshr_b32 s67, s64, s58                                   // 000000003FD4: 8F433A40
	s_mul_i32 s67, s67, s54                                    // 000000003FD8: 92433643
	s_add_u32 s16, s16, s66                                    // 000000003FDC: 80104210
	s_addc_u32 s17, s17, 0                                     // 000000003FE0: 82118011
	s_add_u32 s16, s16, s67                                    // 000000003FE4: 80104310
	s_addc_u32 s17, s17, 0                                     // 000000003FE8: 82118011
	s_mul_i32 s66, s65, s32                                    // 000000003FEC: 92422041
	s_mul_i32 s67, s64, s31                                    // 000000003FF0: 92431F40
	s_add_u32 s67, s67, s66                                    // 000000003FF4: 80434243
	s_add_u32 s8, s8, s67                                      // 000000003FF8: 80084308
	s_addc_u32 s9, s9, 0                                       // 000000003FFC: 82098009
	s_mul_i32 s66, s65, s57                                    // 000000004000: 92423941
	s_mul_i32 s67, s64, s56                                    // 000000004004: 92433840
	s_add_u32 s66, s66, s67                                    // 000000004008: 80424342
	s_add_u32 s4, s4, s66                                      // 00000000400C: 80044204
	s_addc_u32 s5, s5, 0                                       // 000000004010: 82058005
	s_mul_i32 s66, s82, s36                                    // 000000004014: 92422452
	s_add_u32 s8, s8, s66                                      // 000000004018: 80084208
	s_addc_u32 s9, s9, 0                                       // 00000000401C: 82098009
	s_mul_i32 s66, s82, s37                                    // 000000004020: 92422552
	s_add_u32 s4, s4, s66                                      // 000000004024: 80044204
	s_addc_u32 s5, s5, 0                                       // 000000004028: 82058005
	s_mul_i32 s66, s83, s38                                    // 00000000402C: 92422653
	s_add_u32 s12, s12, s66                                    // 000000004030: 800C420C
	s_addc_u32 s13, s13, 0                                     // 000000004034: 820D800D
	s_mul_i32 s66, s83, s39                                    // 000000004038: 92422753
	s_add_u32 s16, s16, s66                                    // 00000000403C: 80104210
	s_addc_u32 s17, s17, 0                                     // 000000004040: 82118011
	s_mov_b32 s10, 0x80000000                                  // 000000004044: BE8A00FF 80000000
	s_mov_b32 s11, 0x20000                                     // 00000000404C: BE8B00FF 00020000
	s_and_b32 s9, s9, 0xffff                                   // 000000004054: 8609FF09 0000FFFF
	s_or_b32 s9, s9, 0                                         // 00000000405C: 87098009
	s_mov_b32 s10, s30                                         // 000000004060: BE8A001E
	s_mov_b32 s14, 0x80000000                                  // 000000004064: BE8E00FF 80000000
	s_mov_b32 s15, 0x20000                                     // 00000000406C: BE8F00FF 00020000
	s_and_b32 s13, s13, 0xffff                                 // 000000004074: 860DFF0D 0000FFFF
	s_or_b32 s13, s13, 0                                       // 00000000407C: 870D800D
	s_mul_i32 s66, s59, s38                                    // 000000004080: 9242263B
	s_mov_b32 s14, s66                                         // 000000004084: BE8E0042
	s_mov_b32 s18, 0x80000000                                  // 000000004088: BE9200FF 80000000
	s_mov_b32 s19, 0x20000                                     // 000000004090: BE9300FF 00020000
	s_and_b32 s17, s17, 0xffff                                 // 000000004098: 8611FF11 0000FFFF
	s_or_b32 s17, s17, 0                                       // 0000000040A0: 87118011
	s_mul_i32 s66, s59, s39                                    // 0000000040A4: 9242273B
	s_mov_b32 s18, s66                                         // 0000000040A8: BE920042
	s_mov_b32 s6, 0x80000000                                   // 0000000040AC: BE8600FF 80000000
	s_mov_b32 s7, 0x20000                                      // 0000000040B4: BE8700FF 00020000
	s_and_b32 s5, s5, 0xffff                                   // 0000000040BC: 8605FF05 0000FFFF
	s_or_b32 s5, s5, 0                                         // 0000000040C4: 87058005
	s_mul_i32 s66, 0x100, s37                                  // 0000000040C8: 924225FF 00000100
	s_mov_b32 s6, s66                                          // 0000000040D0: BE860042
	s_lshr_b32 s66, s62, 1                                     // 0000000040D4: 8F42813E
	s_lshl_b32 s66, s66, 6                                     // 0000000040D8: 8E428642
	s_and_b32 s67, s62, 1                                      // 0000000040DC: 8643813E
	s_lshl_b32 s67, s67, 4                                     // 0000000040E0: 8E438443
	s_add_u32 s66, s66, s67                                    // 0000000040E4: 80424342
	v_add_u32_e32 v184, s66, v198                              // 0000000040E8: 69718C42
	v_and_b32_e32 v185, 3, v0                                  // 0000000040EC: 27720083
	v_lshlrev_b32_e32 v185, 4, v185                            // 0000000040F0: 25737284
	v_mul_i32_i24_e32 v201, s36, v184                          // 0000000040F4: 0D937024
	v_add_u32_e32 v201, v201, v185                             // 0000000040F8: 699373C9
	s_lshl_b32 s67, s36, 3                                     // 0000000040FC: 8E438324
	v_add_u32_e32 v202, s67, v201                              // 000000004100: 69959243
	s_lshr_b32 s66, s62, 1                                     // 000000004104: 8F42813E
	s_mul_i32 s66, s66, 4                                      // 000000004108: 92428442
	s_and_b32 s67, s62, 1                                      // 00000000410C: 8643813E
	s_add_u32 s66, s66, s67                                    // 000000004110: 80424342
	s_mul_i32 s70, s66, 0x820                                  // 000000004114: 9246FF42 00000820
	s_lshr_b32 s66, s62, 1                                     // 00000000411C: 8F42813E
	s_lshl_b32 s66, s66, 6                                     // 000000004120: 8E428642
	s_and_b32 s67, s62, 1                                      // 000000004124: 8643813E
	s_lshl_b32 s67, s67, 4                                     // 000000004128: 8E438443
	s_add_u32 s66, s66, s67                                    // 00000000412C: 80424342
	v_add_u32_e32 v184, s66, v198                              // 000000004130: 69718C42
	v_and_b32_e32 v185, 1, v0                                  // 000000004134: 27720081
	v_lshlrev_b32_e32 v185, 3, v185                            // 000000004138: 25737283
	v_and_b32_e32 v186, 3, v0                                  // 00000000413C: 27740083
	v_lshrrev_b32_e32 v186, 1, v186                            // 000000004140: 21757481
	v_lshlrev_b32_e32 v186, 7, v186                            // 000000004144: 25757487
	v_add3_u32 v206, v184, v185, v186                          // 000000004148: D1FF00CE 06EB73B8
	v_lshlrev_b32_e32 v206, 2, v206                            // 000000004150: 259D9C82
	s_lshr_b32 s66, s62, 1                                     // 000000004154: 8F42813E
	s_and_b32 s66, s66, 1                                      // 000000004158: 86428142
	s_lshl_b32 s66, s66, 6                                     // 00000000415C: 8E428642
	s_and_b32 s67, s62, 1                                      // 000000004160: 8643813E
	s_lshl_b32 s67, s67, 3                                     // 000000004164: 8E438343
	s_add_u32 s66, s66, s67                                    // 000000004168: 80424342
	v_add_u32_e32 v184, s66, v199                              // 00000000416C: 69718E42
	v_and_b32_e32 v185, 1, v0                                  // 000000004170: 27720081
	v_lshlrev_b32_e32 v185, 2, v185                            // 000000004174: 25737282
	v_and_b32_e32 v186, 3, v0                                  // 000000004178: 27740083
	v_lshrrev_b32_e32 v186, 1, v186                            // 00000000417C: 21757481
	v_lshlrev_b32_e32 v186, 1, v186                            // 000000004180: 25757481
	v_add3_u32 v208, v184, v185, v186                          // 000000004184: D1FF00D0 06EB73B8
	v_lshlrev_b32_e32 v208, 2, v208                            // 00000000418C: 25A1A082
	s_lshl_b32 s66, s62, 5                                     // 000000004190: 8E42853E
	v_and_b32_e32 v184, 31, v0                                 // 000000004194: 2770009F
	v_add_u32_e64 v184, v184, s66                              // 000000004198: D13400B8 000085B8
	v_lshrrev_b32_e32 v185, 5, v0                              // 0000000041A0: 21720085
	v_mul_i32_i24_e32 v185, 16, v185                           // 0000000041A4: 0D737290
	v_mul_i32_i24_e32 v186, s37, v184                          // 0000000041A8: 0D757025
	v_add_u32_e32 v220, v185, v186                             // 0000000041AC: 69B975B9
	s_mov_b32 s52, s8                                          // 0000000041B0: BEB40008
	s_mov_b32 s53, s9                                          // 0000000041B4: BEB50009
	s_mov_b32 s54, s4                                          // 0000000041B8: BEB60004
	s_mov_b32 s55, s5                                          // 0000000041BC: BEB70005
	s_add_u32 s56, s29, 0xff                                   // 0000000041C0: 8038FF1D 000000FF
	s_lshr_b32 s56, s56, 8                                     // 0000000041C8: 8F388838
	s_sub_u32 s56, s56, 1                                      // 0000000041CC: 80B88138
	s_mov_b32 s57, s63                                         // 0000000041D0: BEB9003F

00000000000041d4 <label_05D4>:
	s_mul_i32 s67, s30, s57                                    // 0000000041D4: 9243391E
	s_add_u32 s8, s52, s67                                     // 0000000041D8: 80084334
	s_addc_u32 s9, s53, 0                                      // 0000000041DC: 82098035
	s_mul_i32 s67, 0x100, s57                                  // 0000000041E0: 924339FF 00000100
	s_mul_i32 s67, s67, s37                                    // 0000000041E8: 92432543
	s_add_u32 s4, s54, s67                                     // 0000000041EC: 80044336
	s_addc_u32 s5, s55, 0                                      // 0000000041F0: 82058037
	s_mul_i32 s50, s57, 0x100                                  // 0000000041F4: 9232FF39 00000100
	s_sub_i32 s66, s59, s29                                    // 0000000041FC: 81C21D3B
	s_add_i32 s66, s66, s50                                    // 000000004200: 81423242
	s_addk_i32 s66, 0x17f                                      // 000000004204: B742017F
	s_and_b32 s66, s66, 0xffffff80                             // 000000004208: 8642FF42 FFFFFF80
	s_cmp_lt_i32 s66, s59                                      // 000000004210: BF043B42
	s_cselect_b32 s43, s66, s59                                // 000000004214: 852B3B42
	s_mul_i32 s66, s57, 0x100                                  // 000000004218: 9242FF39 00000100
	s_sub_u32 s66, s29, s66                                    // 000000004220: 80C2421D
	s_cmp_le_u32 s66, 0x100                                    // 000000004224: BF0BFF42 00000100
	s_cselect_b32 s66, s66, 0x100                              // 00000000422C: 8542FF42 00000100
	s_mul_i32 s67, s66, s36                                    // 000000004234: 92432442
	s_mov_b32 s10, s67                                         // 000000004238: BE8A0043
	s_mul_i32 s67, s66, s37                                    // 00000000423C: 92432542
	s_mov_b32 s6, s67                                          // 000000004240: BE860043
	v_mov_b64_e32 v[116:117], 0                                // 000000004244: 7EE87080
	v_mov_b64_e32 v[118:119], 0                                // 000000004248: 7EEC7080
	v_mov_b64_e32 v[120:121], 0                                // 00000000424C: 7EF07080
	v_mov_b64_e32 v[122:123], 0                                // 000000004250: 7EF47080
	v_mov_b64_e32 v[124:125], 0                                // 000000004254: 7EF87080
	v_mov_b64_e32 v[126:127], 0                                // 000000004258: 7EFC7080
	v_mov_b64_e32 v[128:129], 0                                // 00000000425C: 7F007080
	v_mov_b64_e32 v[130:131], 0                                // 000000004260: 7F047080
	v_mov_b64_e32 v[132:133], 0                                // 000000004264: 7F087080
	v_mov_b64_e32 v[134:135], 0                                // 000000004268: 7F0C7080
	v_mov_b64_e32 v[136:137], 0                                // 00000000426C: 7F107080
	v_mov_b64_e32 v[138:139], 0                                // 000000004270: 7F147080
	v_mov_b64_e32 v[140:141], 0                                // 000000004274: 7F187080
	v_mov_b64_e32 v[142:143], 0                                // 000000004278: 7F1C7080
	v_mov_b64_e32 v[144:145], 0                                // 00000000427C: 7F207080
	v_mov_b64_e32 v[146:147], 0                                // 000000004280: 7F247080
	v_mov_b64_e32 v[148:149], 0                                // 000000004284: 7F287080
	v_mov_b64_e32 v[150:151], 0                                // 000000004288: 7F2C7080
	v_mov_b64_e32 v[152:153], 0                                // 00000000428C: 7F307080
	v_mov_b64_e32 v[154:155], 0                                // 000000004290: 7F347080
	v_mov_b64_e32 v[156:157], 0                                // 000000004294: 7F387080
	v_mov_b64_e32 v[158:159], 0                                // 000000004298: 7F3C7080
	v_mov_b64_e32 v[160:161], 0                                // 00000000429C: 7F407080
	v_mov_b64_e32 v[162:163], 0                                // 0000000042A0: 7F447080
	v_mov_b64_e32 v[164:165], 0                                // 0000000042A4: 7F487080
	v_mov_b64_e32 v[166:167], 0                                // 0000000042A8: 7F4C7080
	v_mov_b64_e32 v[168:169], 0                                // 0000000042AC: 7F507080
	v_mov_b64_e32 v[170:171], 0                                // 0000000042B0: 7F547080
	v_mov_b64_e32 v[172:173], 0                                // 0000000042B4: 7F587080
	v_mov_b64_e32 v[174:175], 0                                // 0000000042B8: 7F5C7080
	v_mov_b64_e32 v[176:177], 0                                // 0000000042BC: 7F607080
	v_mov_b64_e32 v[178:179], 0                                // 0000000042C0: 7F647080
	v_mov_b32_e32 v192, 0xff800000                             // 0000000042C4: 7F8002FF FF800000
	v_mov_b64_e32 v[188:189], 0                                // 0000000042CC: 7F787080
	v_mov_b64_e32 v[190:191], 0                                // 0000000042D0: 7F7C7080
	s_mov_b32 s68, 0                                           // 0000000042D4: BEC40080
	s_cmp_lt_i32 s62, 4                                        // 0000000042D8: BF04843E
	s_cbranch_scc0 label_1A9C                                  // 0000000042DC: BF8404EF
	s_setprio 1                                                // 0000000042E0: BF8F0001
	s_lshl_b32 s66, s42, 2                                     // 0000000042E4: 8E42822A
	v_add_u32_e32 v207, s66, v206                              // 0000000042E8: 699F9C42
	v_lshrrev_b32_e32 v180, 2, v207                            // 0000000042EC: 21699E82
	v_add_u32_e32 v207, 0x400, v207                            // 0000000042F0: 699F9EFF 00000400
	v_mov_b32_e32 v203, v201                                   // 0000000042F8: 7F9603C9
	v_mov_b32_e32 v204, v202                                   // 0000000042FC: 7F9803CA
	s_add_u32 m0, s70, 0                                       // 000000004300: 807C8046
	buffer_load_dwordx4 v203, s[8:11], 0 offen lds             // 000000004304: E05D1000 800200CB
	s_add_u32 m0, s70, 0x410                                   // 00000000430C: 807CFF46 00000410
	buffer_load_dwordx4 v204, s[8:11], 0 offen lds             // 000000004314: E05D1000 800200CC
	s_add_u32 m0, s70, 0x1000                                  // 00000000431C: 807CFF46 00001000
	buffer_load_dwordx4 v203, s[8:11], 0 offen offset:64 lds   // 000000004324: E05D1040 800200CB
	s_add_u32 m0, s70, 0x1410                                  // 00000000432C: 807CFF46 00001410
	buffer_load_dwordx4 v204, s[8:11], 0 offen offset:64 lds   // 000000004334: E05D1040 800200CC
	s_sub_i32 s66, s59, s29                                    // 00000000433C: 81C21D3B
	s_add_i32 s66, s66, s50                                    // 000000004340: 81423242
	s_addk_i32 s66, 0x1                                        // 000000004344: B7420001
	v_add_u32_e32 v194, s66, v196                              // 000000004348: 69858842
	v_cmp_lt_i32_e64 vcc, v194, s43                            // 00000000434C: D0C1006A 000057C2
	v_mov_b32_e32 v184, s43                                    // 000000004354: 7F70022B
	v_cndmask_b32_e32 v194, v184, v194, vcc                    // 000000004358: 018585B8
	s_cmp_lt_i32 s66, s43                                      // 00000000435C: BF042B42
	s_cselect_b32 s66, s66, s43                                // 000000004360: 85422B42
	s_and_b32 s69, s66, 0xffffff80                             // 000000004364: 8645FF42 FFFFFF80
	v_mov_b32_e32 v221, v220                                   // 00000000436C: 7FBA03DC
	v_and_b32_e32 v184, 3, v0                                  // 000000004370: 27700083
	v_lshlrev_b32_e32 v210, 4, v184                            // 000000004374: 25A57084
	s_waitcnt vmcnt(0)                                         // 000000004378: BF8C0F70
	v_mul_i32_i24_dpp v184, v180, v222 quad_perm:[0,0,0,0] row_mask:0xf bank_mask:0xf// 00000000437C: 0D71BCFA FF0000B4
	v_mul_i32_i24_dpp v185, v180, v222 quad_perm:[1,1,1,1] row_mask:0xf bank_mask:0xf// 000000004384: 0D73BCFA FF0055B4
	v_add_u32_e32 v211, v210, v184                             // 00000000438C: 69A771D2
	v_add_u32_e32 v212, v210, v185                             // 000000004390: 69A973D2
	s_add_u32 m0, s71, 0                                       // 000000004394: 807C8047
	buffer_load_dwordx4 v211, s[12:15], 0 offen lds            // 000000004398: E05D1000 800300D3
	s_add_u32 m0, s71, 0x410                                   // 0000000043A0: 807CFF47 00000410
	buffer_load_dwordx4 v212, s[12:15], 0 offen lds            // 0000000043A8: E05D1000 800300D4
	s_add_u32 m0, s71, 0x1000                                  // 0000000043B0: 807CFF47 00001000
	buffer_load_dwordx4 v211, s[12:15], 0 offen offset:64 lds  // 0000000043B8: E05D1040 800300D3
	s_add_u32 m0, s71, 0x1410                                  // 0000000043C0: 807CFF47 00001410
	buffer_load_dwordx4 v212, s[12:15], 0 offen offset:64 lds  // 0000000043C8: E05D1040 800300D4
	s_waitcnt vmcnt(0)                                         // 0000000043D0: BF8C0F70
	s_barrier                                                  // 0000000043D4: BF8A0000
	ds_read_b128 v[4:7], v205                                  // 0000000043D8: D9FE0000 040000CD
	ds_read_b128 v[8:11], v205 offset:32                       // 0000000043E0: D9FE0020 080000CD
	ds_read_b128 v[12:15], v205 offset:4160                    // 0000000043E8: D9FE1040 0C0000CD
	ds_read_b128 v[16:19], v205 offset:4192                    // 0000000043F0: D9FE1060 100000CD
	s_waitcnt vmcnt(0)                                         // 0000000043F8: BF8C0F70
	s_barrier                                                  // 0000000043FC: BF8A0000
	ds_read_b128 v[20:23], v218                                // 000000004400: D9FE0000 140000DA
	ds_read_b128 v[24:27], v218 offset:32                      // 000000004408: D9FE0020 180000DA
	ds_read_b128 v[28:31], v218 offset:4160                    // 000000004410: D9FE1040 1C0000DA
	ds_read_b128 v[32:35], v218 offset:4192                    // 000000004418: D9FE1060 200000DA

0000000000004420 <label_0820>:
	s_cmp_lt_i32 s68, s69                                      // 000000004420: BF044544
	s_cbranch_scc0 label_2EC8                                  // 000000004424: BF8409A8
	s_waitcnt lgkmcnt(2)                                       // 000000004428: BF8CC27F
	v_mfma_f32_32x32x64_f8f6f4 v[52:67], v[20:27], v[4:11], 0  // 00000000442C: D3AE0034 02020914
	v_mul_i32_i24_dpp v184, v180, v222 quad_perm:[2,2,2,2] row_mask:0xf bank_mask:0xf// 000000004434: 0D71BCFA FF00AAB4
	v_mul_i32_i24_dpp v185, v180, v222 quad_perm:[3,3,3,3] row_mask:0xf bank_mask:0xf// 00000000443C: 0D73BCFA FF00FFB4
	v_add_u32_e32 v211, v210, v184                             // 000000004444: 69A771D2
	v_add_u32_e32 v212, v210, v185                             // 000000004448: 69A973D2
	ds_read_b128 v[36:39], v218 offset:512                     // 00000000444C: D9FE0200 240000DA
	ds_read_b128 v[40:43], v218 offset:544                     // 000000004454: D9FE0220 280000DA
	s_waitcnt lgkmcnt(2)                                       // 00000000445C: BF8CC27F
	v_mfma_f32_32x32x64_f8f6f4 v[52:67], v[28:35], v[12:19], v[52:67]// 000000004460: D3AE0034 04D2191C
	s_add_u32 m0, s71, 0x4100                                  // 000000004468: 807CFF47 00004100
	buffer_load_dwordx4 v211, s[12:15], 0 offen lds            // 000000004470: E05D1000 800300D3
	ds_read_b128 v[44:47], v218 offset:4672                    // 000000004478: D9FE1240 2C0000DA
	ds_read_b128 v[48:51], v218 offset:4704                    // 000000004480: D9FE1260 300000DA
	s_waitcnt lgkmcnt(2)                                       // 000000004488: BF8CC27F
	v_mfma_f32_32x32x64_f8f6f4 v[68:83], v[36:43], v[4:11], 0  // 00000000448C: D3AE0044 02020924
	s_add_u32 m0, s71, 0x4510                                  // 000000004494: 807CFF47 00004510
	buffer_load_dwordx4 v212, s[12:15], 0 offen lds            // 00000000449C: E05D1000 800300D4
	ds_read_b128 v[20:23], v218 offset:8320                    // 0000000044A4: D9FE2080 140000DA
	ds_read_b128 v[24:27], v218 offset:8352                    // 0000000044AC: D9FE20A0 180000DA
	s_waitcnt lgkmcnt(2)                                       // 0000000044B4: BF8CC27F
	v_mfma_f32_32x32x64_f8f6f4 v[68:83], v[44:51], v[12:19], v[68:83]// 0000000044B8: D3AE0044 0512192C
	s_add_u32 m0, s71, 0x5100                                  // 0000000044C0: 807CFF47 00005100
	buffer_load_dwordx4 v211, s[12:15], 0 offen offset:64 lds  // 0000000044C8: E05D1040 800300D3
	ds_read_b128 v[28:31], v218 offset:12480                   // 0000000044D0: D9FE30C0 1C0000DA
	ds_read_b128 v[32:35], v218 offset:12512                   // 0000000044D8: D9FE30E0 200000DA
	s_waitcnt lgkmcnt(2)                                       // 0000000044E0: BF8CC27F
	v_mfma_f32_32x32x64_f8f6f4 v[84:99], v[20:27], v[4:11], 0  // 0000000044E4: D3AE0054 02020914
	s_add_u32 m0, s71, 0x5510                                  // 0000000044EC: 807CFF47 00005510
	buffer_load_dwordx4 v212, s[12:15], 0 offen offset:64 lds  // 0000000044F4: E05D1040 800300D4
	ds_read_b128 v[36:39], v218 offset:8832                    // 0000000044FC: D9FE2280 240000DA
	ds_read_b128 v[40:43], v218 offset:8864                    // 000000004504: D9FE22A0 280000DA
	s_waitcnt lgkmcnt(2)                                       // 00000000450C: BF8CC27F
	v_mfma_f32_32x32x64_f8f6f4 v[84:99], v[28:35], v[12:19], v[84:99]// 000000004510: D3AE0054 0552191C
	v_lshrrev_b32_e32 v180, 2, v207                            // 000000004518: 21699E82
	v_add_u32_e32 v207, 0x400, v207                            // 00000000451C: 699F9EFF 00000400
	ds_read_b128 v[44:47], v218 offset:12992                   // 000000004524: D9FE32C0 2C0000DA
	ds_read_b128 v[48:51], v218 offset:13024                   // 00000000452C: D9FE32E0 300000DA
	s_waitcnt lgkmcnt(2)                                       // 000000004534: BF8CC27F
	v_mfma_f32_32x32x64_f8f6f4 v[100:115], v[36:43], v[4:11], 0// 000000004538: D3AE0064 02020924
	s_barrier                                                  // 000000004540: BF8A0000
	ds_read_b64_tr_b8 v[20:21], v219                           // 000000004544: D9C40000 140000DB
	ds_read_b64_tr_b8 v[22:23], v219 offset:256                // 00000000454C: D9C40100 160000DB
	ds_read_b64_tr_b8 v[24:25], v219 offset:512                // 000000004554: D9C40200 180000DB
	ds_read_b64_tr_b8 v[26:27], v219 offset:768                // 00000000455C: D9C40300 1A0000DB
	s_waitcnt lgkmcnt(4)                                       // 000000004564: BF8CC47F
	v_mfma_f32_32x32x64_f8f6f4 v[100:115], v[44:51], v[12:19], v[100:115]// 000000004568: D3AE0064 0592192C
	ds_read_b64_tr_b8 v[28:29], v219 offset:8320               // 000000004570: D9C42080 1C0000DB
	ds_read_b64_tr_b8 v[30:31], v219 offset:8576               // 000000004578: D9C42180 1E0000DB
	ds_read_b64_tr_b8 v[32:33], v219 offset:8832               // 000000004580: D9C42280 200000DB
	ds_read_b64_tr_b8 v[34:35], v219 offset:9088               // 000000004588: D9C42380 220000DB
	s_nop 5                                                    // 000000004590: BF800005
	s_barrier                                                  // 000000004594: BF8A0000
	s_setprio 0                                                // 000000004598: BF8F0000
	s_barrier                                                  // 00000000459C: BF8A0000
	v_mov_b32_e32 v193, v192                                   // 0000000045A0: 7F8203C0
	v_max3_f32 v193, v52, v53, v193                            // 0000000045A4: D1D300C1 07066B34
	v_max3_f32 v193, v54, v55, v193                            // 0000000045AC: D1D300C1 07066F36
	v_max3_f32 v193, v56, v57, v193                            // 0000000045B4: D1D300C1 07067338
	v_max3_f32 v193, v58, v59, v193                            // 0000000045BC: D1D300C1 0706773A
	v_max3_f32 v193, v60, v61, v193                            // 0000000045C4: D1D300C1 07067B3C
	v_max3_f32 v193, v62, v63, v193                            // 0000000045CC: D1D300C1 07067F3E
	v_max3_f32 v193, v64, v65, v193                            // 0000000045D4: D1D300C1 07068340
	v_max3_f32 v193, v66, v67, v193                            // 0000000045DC: D1D300C1 07068742
	v_max3_f32 v193, v68, v69, v193                            // 0000000045E4: D1D300C1 07068B44
	v_max3_f32 v193, v70, v71, v193                            // 0000000045EC: D1D300C1 07068F46
	v_max3_f32 v193, v72, v73, v193                            // 0000000045F4: D1D300C1 07069348
	v_max3_f32 v193, v74, v75, v193                            // 0000000045FC: D1D300C1 0706974A
	v_max3_f32 v193, v76, v77, v193                            // 000000004604: D1D300C1 07069B4C
	v_max3_f32 v193, v78, v79, v193                            // 00000000460C: D1D300C1 07069F4E
	v_max3_f32 v193, v80, v81, v193                            // 000000004614: D1D300C1 0706A350
	v_max3_f32 v193, v82, v83, v193                            // 00000000461C: D1D300C1 0706A752
	v_max3_f32 v193, v84, v85, v193                            // 000000004624: D1D300C1 0706AB54
	v_max3_f32 v193, v86, v87, v193                            // 00000000462C: D1D300C1 0706AF56
	v_max3_f32 v193, v88, v89, v193                            // 000000004634: D1D300C1 0706B358
	v_max3_f32 v193, v90, v91, v193                            // 00000000463C: D1D300C1 0706B75A
	v_max3_f32 v193, v92, v93, v193                            // 000000004644: D1D300C1 0706BB5C
	v_max3_f32 v193, v94, v95, v193                            // 00000000464C: D1D300C1 0706BF5E
	v_max3_f32 v193, v96, v97, v193                            // 000000004654: D1D300C1 0706C360
	v_max3_f32 v193, v98, v99, v193                            // 00000000465C: D1D300C1 0706C762
	v_max3_f32 v193, v100, v101, v193                          // 000000004664: D1D300C1 0706CB64
	v_max3_f32 v193, v102, v103, v193                          // 00000000466C: D1D300C1 0706CF66
	v_max3_f32 v193, v104, v105, v193                          // 000000004674: D1D300C1 0706D368
	v_max3_f32 v193, v106, v107, v193                          // 00000000467C: D1D300C1 0706D76A
	v_max3_f32 v193, v108, v109, v193                          // 000000004684: D1D300C1 0706DB6C
	v_max3_f32 v193, v110, v111, v193                          // 00000000468C: D1D300C1 0706DF6E
	v_max3_f32 v193, v112, v113, v193                          // 000000004694: D1D300C1 0706E370
	v_max3_f32 v193, v114, v115, v193                          // 00000000469C: D1D300C1 0706E772
	v_mov_b32_e32 v184, v193                                   // 0000000046A4: 7F7003C1
	s_nop 1                                                    // 0000000046A8: BF800001
	s_nop 0                                                    // 0000000046AC: BF800000
	v_permlane32_swap_b32_e32 v184, v193                       // 0000000046B0: 7F70B5C1
	v_max_f32_e32 v193, v193, v184                             // 0000000046B4: 178371C1
	v_cmp_eq_u32_e64 s[66:67], v197, v193                      // 0000000046B8: D0CA0042 000383C5
	s_nop 0                                                    // 0000000046C0: BF800000
	v_cndmask_b32_e64 v193, v193, 0, s[66:67]                  // 0000000046C4: D10000C1 010901C1
	v_mul_f32_e64 v184, -s26, v193                             // 0000000046CC: D10500B8 2003821A
	v_mov_b32_e32 v185, v184                                   // 0000000046D4: 7F7203B8
	v_pk_fma_f32 v[52:53], v[52:53], s[26:27], v[184:185]      // 0000000046D8: D3B04034 1EE03534
	v_pk_fma_f32 v[54:55], v[54:55], s[26:27], v[184:185]      // 0000000046E0: D3B04036 1EE03536
	v_pk_fma_f32 v[56:57], v[56:57], s[26:27], v[184:185]      // 0000000046E8: D3B04038 1EE03538
	v_pk_fma_f32 v[58:59], v[58:59], s[26:27], v[184:185]      // 0000000046F0: D3B0403A 1EE0353A
	v_pk_fma_f32 v[60:61], v[60:61], s[26:27], v[184:185]      // 0000000046F8: D3B0403C 1EE0353C
	v_pk_fma_f32 v[62:63], v[62:63], s[26:27], v[184:185]      // 000000004700: D3B0403E 1EE0353E
	v_pk_fma_f32 v[64:65], v[64:65], s[26:27], v[184:185]      // 000000004708: D3B04040 1EE03540
	v_pk_fma_f32 v[66:67], v[66:67], s[26:27], v[184:185]      // 000000004710: D3B04042 1EE03542
	v_pk_fma_f32 v[68:69], v[68:69], s[26:27], v[184:185]      // 000000004718: D3B04044 1EE03544
	v_pk_fma_f32 v[70:71], v[70:71], s[26:27], v[184:185]      // 000000004720: D3B04046 1EE03546
	v_pk_fma_f32 v[72:73], v[72:73], s[26:27], v[184:185]      // 000000004728: D3B04048 1EE03548
	v_pk_fma_f32 v[74:75], v[74:75], s[26:27], v[184:185]      // 000000004730: D3B0404A 1EE0354A
	v_pk_fma_f32 v[76:77], v[76:77], s[26:27], v[184:185]      // 000000004738: D3B0404C 1EE0354C
	v_pk_fma_f32 v[78:79], v[78:79], s[26:27], v[184:185]      // 000000004740: D3B0404E 1EE0354E
	v_pk_fma_f32 v[80:81], v[80:81], s[26:27], v[184:185]      // 000000004748: D3B04050 1EE03550
	v_pk_fma_f32 v[82:83], v[82:83], s[26:27], v[184:185]      // 000000004750: D3B04052 1EE03552
	v_pk_fma_f32 v[84:85], v[84:85], s[26:27], v[184:185]      // 000000004758: D3B04054 1EE03554
	v_pk_fma_f32 v[86:87], v[86:87], s[26:27], v[184:185]      // 000000004760: D3B04056 1EE03556
	v_pk_fma_f32 v[88:89], v[88:89], s[26:27], v[184:185]      // 000000004768: D3B04058 1EE03558
	v_pk_fma_f32 v[90:91], v[90:91], s[26:27], v[184:185]      // 000000004770: D3B0405A 1EE0355A
	v_pk_fma_f32 v[92:93], v[92:93], s[26:27], v[184:185]      // 000000004778: D3B0405C 1EE0355C
	v_pk_fma_f32 v[94:95], v[94:95], s[26:27], v[184:185]      // 000000004780: D3B0405E 1EE0355E
	v_pk_fma_f32 v[96:97], v[96:97], s[26:27], v[184:185]      // 000000004788: D3B04060 1EE03560
	v_pk_fma_f32 v[98:99], v[98:99], s[26:27], v[184:185]      // 000000004790: D3B04062 1EE03562
	v_pk_fma_f32 v[100:101], v[100:101], s[26:27], v[184:185]  // 000000004798: D3B04064 1EE03564
	v_pk_fma_f32 v[102:103], v[102:103], s[26:27], v[184:185]  // 0000000047A0: D3B04066 1EE03566
	v_pk_fma_f32 v[104:105], v[104:105], s[26:27], v[184:185]  // 0000000047A8: D3B04068 1EE03568
	v_pk_fma_f32 v[106:107], v[106:107], s[26:27], v[184:185]  // 0000000047B0: D3B0406A 1EE0356A
	v_pk_fma_f32 v[108:109], v[108:109], s[26:27], v[184:185]  // 0000000047B8: D3B0406C 1EE0356C
	v_pk_fma_f32 v[110:111], v[110:111], s[26:27], v[184:185]  // 0000000047C0: D3B0406E 1EE0356E
	v_pk_fma_f32 v[112:113], v[112:113], s[26:27], v[184:185]  // 0000000047C8: D3B04070 1EE03570
	v_pk_fma_f32 v[114:115], v[114:115], s[26:27], v[184:185]  // 0000000047D0: D3B04072 1EE03572
	s_barrier                                                  // 0000000047D8: BF8A0000
	v_exp_f32_e32 v52, v52                                     // 0000000047DC: 7E684134
	v_exp_f32_e32 v53, v53                                     // 0000000047E0: 7E6A4135
	v_exp_f32_e32 v54, v54                                     // 0000000047E4: 7E6C4136
	v_exp_f32_e32 v55, v55                                     // 0000000047E8: 7E6E4137
	v_exp_f32_e32 v56, v56                                     // 0000000047EC: 7E704138
	v_exp_f32_e32 v57, v57                                     // 0000000047F0: 7E724139
	v_exp_f32_e32 v58, v58                                     // 0000000047F4: 7E74413A
	v_exp_f32_e32 v59, v59                                     // 0000000047F8: 7E76413B
	v_exp_f32_e32 v60, v60                                     // 0000000047FC: 7E78413C
	v_exp_f32_e32 v61, v61                                     // 000000004800: 7E7A413D
	v_exp_f32_e32 v62, v62                                     // 000000004804: 7E7C413E
	v_exp_f32_e32 v63, v63                                     // 000000004808: 7E7E413F
	v_exp_f32_e32 v64, v64                                     // 00000000480C: 7E804140
	v_exp_f32_e32 v65, v65                                     // 000000004810: 7E824141
	v_exp_f32_e32 v66, v66                                     // 000000004814: 7E844142
	v_exp_f32_e32 v67, v67                                     // 000000004818: 7E864143
	v_exp_f32_e32 v68, v68                                     // 00000000481C: 7E884144
	v_exp_f32_e32 v69, v69                                     // 000000004820: 7E8A4145
	v_exp_f32_e32 v70, v70                                     // 000000004824: 7E8C4146
	v_exp_f32_e32 v71, v71                                     // 000000004828: 7E8E4147
	v_exp_f32_e32 v72, v72                                     // 00000000482C: 7E904148
	v_exp_f32_e32 v73, v73                                     // 000000004830: 7E924149
	v_exp_f32_e32 v74, v74                                     // 000000004834: 7E94414A
	v_exp_f32_e32 v75, v75                                     // 000000004838: 7E96414B
	v_exp_f32_e32 v76, v76                                     // 00000000483C: 7E98414C
	v_exp_f32_e32 v77, v77                                     // 000000004840: 7E9A414D
	v_exp_f32_e32 v78, v78                                     // 000000004844: 7E9C414E
	v_exp_f32_e32 v79, v79                                     // 000000004848: 7E9E414F
	v_exp_f32_e32 v80, v80                                     // 00000000484C: 7EA04150
	v_exp_f32_e32 v81, v81                                     // 000000004850: 7EA24151
	v_exp_f32_e32 v82, v82                                     // 000000004854: 7EA44152
	v_exp_f32_e32 v83, v83                                     // 000000004858: 7EA64153
	v_exp_f32_e32 v84, v84                                     // 00000000485C: 7EA84154
	v_exp_f32_e32 v85, v85                                     // 000000004860: 7EAA4155
	v_exp_f32_e32 v86, v86                                     // 000000004864: 7EAC4156
	v_exp_f32_e32 v87, v87                                     // 000000004868: 7EAE4157
	v_exp_f32_e32 v88, v88                                     // 00000000486C: 7EB04158
	v_exp_f32_e32 v89, v89                                     // 000000004870: 7EB24159
	v_exp_f32_e32 v90, v90                                     // 000000004874: 7EB4415A
	v_exp_f32_e32 v91, v91                                     // 000000004878: 7EB6415B
	v_exp_f32_e32 v92, v92                                     // 00000000487C: 7EB8415C
	v_exp_f32_e32 v93, v93                                     // 000000004880: 7EBA415D
	v_exp_f32_e32 v94, v94                                     // 000000004884: 7EBC415E
	v_exp_f32_e32 v95, v95                                     // 000000004888: 7EBE415F
	v_exp_f32_e32 v96, v96                                     // 00000000488C: 7EC04160
	v_exp_f32_e32 v97, v97                                     // 000000004890: 7EC24161
	v_exp_f32_e32 v98, v98                                     // 000000004894: 7EC44162
	v_exp_f32_e32 v99, v99                                     // 000000004898: 7EC64163
	v_exp_f32_e32 v100, v100                                   // 00000000489C: 7EC84164
	v_exp_f32_e32 v101, v101                                   // 0000000048A0: 7ECA4165
	v_exp_f32_e32 v102, v102                                   // 0000000048A4: 7ECC4166
	v_exp_f32_e32 v103, v103                                   // 0000000048A8: 7ECE4167
	v_exp_f32_e32 v104, v104                                   // 0000000048AC: 7ED04168
	v_exp_f32_e32 v105, v105                                   // 0000000048B0: 7ED24169
	v_exp_f32_e32 v106, v106                                   // 0000000048B4: 7ED4416A
	v_exp_f32_e32 v107, v107                                   // 0000000048B8: 7ED6416B
	v_exp_f32_e32 v108, v108                                   // 0000000048BC: 7ED8416C
	v_exp_f32_e32 v109, v109                                   // 0000000048C0: 7EDA416D
	v_exp_f32_e32 v110, v110                                   // 0000000048C4: 7EDC416E
	v_exp_f32_e32 v111, v111                                   // 0000000048C8: 7EDE416F
	v_exp_f32_e32 v112, v112                                   // 0000000048CC: 7EE04170
	v_exp_f32_e32 v113, v113                                   // 0000000048D0: 7EE24171
	v_exp_f32_e32 v114, v114                                   // 0000000048D4: 7EE44172
	v_exp_f32_e32 v115, v115                                   // 0000000048D8: 7EE64173
	v_sub_f32_e32 v188, v192, v193                             // 0000000048DC: 057983C0
	v_cmp_eq_u32_e64 s[66:67], v197, v192                      // 0000000048E0: D0CA0042 000381C5
	s_nop 0                                                    // 0000000048E8: BF800000
	v_cndmask_b32_e64 v188, v188, 0, s[66:67]                  // 0000000048EC: D10000BC 010901BC
	v_mov_b32_e32 v192, v193                                   // 0000000048F4: 7F8003C1
	v_mul_f32_e32 v188, s26, v188                              // 0000000048F8: 0B79781A
	v_exp_f32_e32 v188, v188                                   // 0000000048FC: 7F7841BC
	s_nop 0                                                    // 000000004900: BF800000
	v_mul_f32_e32 v190, v188, v190                             // 000000004904: 0B7D7DBC
	v_add_f32_e32 v190, v52, v190                              // 000000004908: 037D7D34
	v_add_f32_e32 v190, v53, v190                              // 00000000490C: 037D7D35
	v_add_f32_e32 v190, v54, v190                              // 000000004910: 037D7D36
	v_add_f32_e32 v190, v55, v190                              // 000000004914: 037D7D37
	v_add_f32_e32 v190, v56, v190                              // 000000004918: 037D7D38
	v_add_f32_e32 v190, v57, v190                              // 00000000491C: 037D7D39
	v_add_f32_e32 v190, v58, v190                              // 000000004920: 037D7D3A
	v_add_f32_e32 v190, v59, v190                              // 000000004924: 037D7D3B
	v_add_f32_e32 v190, v60, v190                              // 000000004928: 037D7D3C
	v_add_f32_e32 v190, v61, v190                              // 00000000492C: 037D7D3D
	v_add_f32_e32 v190, v62, v190                              // 000000004930: 037D7D3E
	v_add_f32_e32 v190, v63, v190                              // 000000004934: 037D7D3F
	v_add_f32_e32 v190, v64, v190                              // 000000004938: 037D7D40
	v_add_f32_e32 v190, v65, v190                              // 00000000493C: 037D7D41
	v_add_f32_e32 v190, v66, v190                              // 000000004940: 037D7D42
	v_add_f32_e32 v190, v67, v190                              // 000000004944: 037D7D43
	v_add_f32_e32 v190, v68, v190                              // 000000004948: 037D7D44
	v_add_f32_e32 v190, v69, v190                              // 00000000494C: 037D7D45
	v_add_f32_e32 v190, v70, v190                              // 000000004950: 037D7D46
	v_add_f32_e32 v190, v71, v190                              // 000000004954: 037D7D47
	v_add_f32_e32 v190, v72, v190                              // 000000004958: 037D7D48
	v_add_f32_e32 v190, v73, v190                              // 00000000495C: 037D7D49
	v_add_f32_e32 v190, v74, v190                              // 000000004960: 037D7D4A
	v_add_f32_e32 v190, v75, v190                              // 000000004964: 037D7D4B
	v_add_f32_e32 v190, v76, v190                              // 000000004968: 037D7D4C
	v_add_f32_e32 v190, v77, v190                              // 00000000496C: 037D7D4D
	v_add_f32_e32 v190, v78, v190                              // 000000004970: 037D7D4E
	v_add_f32_e32 v190, v79, v190                              // 000000004974: 037D7D4F
	v_add_f32_e32 v190, v80, v190                              // 000000004978: 037D7D50
	v_add_f32_e32 v190, v81, v190                              // 00000000497C: 037D7D51
	v_add_f32_e32 v190, v82, v190                              // 000000004980: 037D7D52
	v_add_f32_e32 v190, v83, v190                              // 000000004984: 037D7D53
	v_add_f32_e32 v190, v84, v190                              // 000000004988: 037D7D54
	v_add_f32_e32 v190, v85, v190                              // 00000000498C: 037D7D55
	v_add_f32_e32 v190, v86, v190                              // 000000004990: 037D7D56
	v_add_f32_e32 v190, v87, v190                              // 000000004994: 037D7D57
	v_add_f32_e32 v190, v88, v190                              // 000000004998: 037D7D58
	v_add_f32_e32 v190, v89, v190                              // 00000000499C: 037D7D59
	v_add_f32_e32 v190, v90, v190                              // 0000000049A0: 037D7D5A
	v_add_f32_e32 v190, v91, v190                              // 0000000049A4: 037D7D5B
	v_add_f32_e32 v190, v92, v190                              // 0000000049A8: 037D7D5C
	v_add_f32_e32 v190, v93, v190                              // 0000000049AC: 037D7D5D
	v_add_f32_e32 v190, v94, v190                              // 0000000049B0: 037D7D5E
	v_add_f32_e32 v190, v95, v190                              // 0000000049B4: 037D7D5F
	v_add_f32_e32 v190, v96, v190                              // 0000000049B8: 037D7D60
	v_add_f32_e32 v190, v97, v190                              // 0000000049BC: 037D7D61
	v_add_f32_e32 v190, v98, v190                              // 0000000049C0: 037D7D62
	v_add_f32_e32 v190, v99, v190                              // 0000000049C4: 037D7D63
	v_add_f32_e32 v190, v100, v190                             // 0000000049C8: 037D7D64
	v_add_f32_e32 v190, v101, v190                             // 0000000049CC: 037D7D65
	v_add_f32_e32 v190, v102, v190                             // 0000000049D0: 037D7D66
	v_add_f32_e32 v190, v103, v190                             // 0000000049D4: 037D7D67
	v_add_f32_e32 v190, v104, v190                             // 0000000049D8: 037D7D68
	v_add_f32_e32 v190, v105, v190                             // 0000000049DC: 037D7D69
	v_add_f32_e32 v190, v106, v190                             // 0000000049E0: 037D7D6A
	v_add_f32_e32 v190, v107, v190                             // 0000000049E4: 037D7D6B
	v_add_f32_e32 v190, v108, v190                             // 0000000049E8: 037D7D6C
	v_add_f32_e32 v190, v109, v190                             // 0000000049EC: 037D7D6D
	v_add_f32_e32 v190, v110, v190                             // 0000000049F0: 037D7D6E
	v_add_f32_e32 v190, v111, v190                             // 0000000049F4: 037D7D6F
	v_add_f32_e32 v190, v112, v190                             // 0000000049F8: 037D7D70
	v_add_f32_e32 v190, v113, v190                             // 0000000049FC: 037D7D71
	v_add_f32_e32 v190, v114, v190                             // 000000004A00: 037D7D72
	v_add_f32_e32 v190, v115, v190                             // 000000004A04: 037D7D73
	v_mul_f32_e32 v116, v188, v116                             // 000000004A08: 0AE8E9BC
	v_mul_f32_e32 v117, v188, v117                             // 000000004A0C: 0AEAEBBC
	v_mul_f32_e32 v118, v188, v118                             // 000000004A10: 0AECEDBC
	v_mul_f32_e32 v119, v188, v119                             // 000000004A14: 0AEEEFBC
	v_mul_f32_e32 v120, v188, v120                             // 000000004A18: 0AF0F1BC
	v_mul_f32_e32 v121, v188, v121                             // 000000004A1C: 0AF2F3BC
	v_mul_f32_e32 v122, v188, v122                             // 000000004A20: 0AF4F5BC
	v_mul_f32_e32 v123, v188, v123                             // 000000004A24: 0AF6F7BC
	v_mul_f32_e32 v124, v188, v124                             // 000000004A28: 0AF8F9BC
	v_mul_f32_e32 v125, v188, v125                             // 000000004A2C: 0AFAFBBC
	v_mul_f32_e32 v126, v188, v126                             // 000000004A30: 0AFCFDBC
	v_mul_f32_e32 v127, v188, v127                             // 000000004A34: 0AFEFFBC
	v_mul_f32_e32 v128, v188, v128                             // 000000004A38: 0B0101BC
	v_mul_f32_e32 v129, v188, v129                             // 000000004A3C: 0B0303BC
	v_mul_f32_e32 v130, v188, v130                             // 000000004A40: 0B0505BC
	v_mul_f32_e32 v131, v188, v131                             // 000000004A44: 0B0707BC
	v_mul_f32_e32 v132, v188, v132                             // 000000004A48: 0B0909BC
	v_mul_f32_e32 v133, v188, v133                             // 000000004A4C: 0B0B0BBC
	v_mul_f32_e32 v134, v188, v134                             // 000000004A50: 0B0D0DBC
	v_mul_f32_e32 v135, v188, v135                             // 000000004A54: 0B0F0FBC
	v_mul_f32_e32 v136, v188, v136                             // 000000004A58: 0B1111BC
	v_mul_f32_e32 v137, v188, v137                             // 000000004A5C: 0B1313BC
	v_mul_f32_e32 v138, v188, v138                             // 000000004A60: 0B1515BC
	v_mul_f32_e32 v139, v188, v139                             // 000000004A64: 0B1717BC
	v_mul_f32_e32 v140, v188, v140                             // 000000004A68: 0B1919BC
	v_mul_f32_e32 v141, v188, v141                             // 000000004A6C: 0B1B1BBC
	v_mul_f32_e32 v142, v188, v142                             // 000000004A70: 0B1D1DBC
	v_mul_f32_e32 v143, v188, v143                             // 000000004A74: 0B1F1FBC
	v_mul_f32_e32 v144, v188, v144                             // 000000004A78: 0B2121BC
	v_mul_f32_e32 v145, v188, v145                             // 000000004A7C: 0B2323BC
	v_mul_f32_e32 v146, v188, v146                             // 000000004A80: 0B2525BC
	v_mul_f32_e32 v147, v188, v147                             // 000000004A84: 0B2727BC
	v_mul_f32_e32 v148, v188, v148                             // 000000004A88: 0B2929BC
	v_mul_f32_e32 v149, v188, v149                             // 000000004A8C: 0B2B2BBC
	v_mul_f32_e32 v150, v188, v150                             // 000000004A90: 0B2D2DBC
	v_mul_f32_e32 v151, v188, v151                             // 000000004A94: 0B2F2FBC
	v_mul_f32_e32 v152, v188, v152                             // 000000004A98: 0B3131BC
	v_mul_f32_e32 v153, v188, v153                             // 000000004A9C: 0B3333BC
	v_mul_f32_e32 v154, v188, v154                             // 000000004AA0: 0B3535BC
	v_mul_f32_e32 v155, v188, v155                             // 000000004AA4: 0B3737BC
	v_mul_f32_e32 v156, v188, v156                             // 000000004AA8: 0B3939BC
	v_mul_f32_e32 v157, v188, v157                             // 000000004AAC: 0B3B3BBC
	v_mul_f32_e32 v158, v188, v158                             // 000000004AB0: 0B3D3DBC
	v_mul_f32_e32 v159, v188, v159                             // 000000004AB4: 0B3F3FBC
	v_mul_f32_e32 v160, v188, v160                             // 000000004AB8: 0B4141BC
	v_mul_f32_e32 v161, v188, v161                             // 000000004ABC: 0B4343BC
	v_mul_f32_e32 v162, v188, v162                             // 000000004AC0: 0B4545BC
	v_mul_f32_e32 v163, v188, v163                             // 000000004AC4: 0B4747BC
	v_mul_f32_e32 v164, v188, v164                             // 000000004AC8: 0B4949BC
	v_mul_f32_e32 v165, v188, v165                             // 000000004ACC: 0B4B4BBC
	v_mul_f32_e32 v166, v188, v166                             // 000000004AD0: 0B4D4DBC
	v_mul_f32_e32 v167, v188, v167                             // 000000004AD4: 0B4F4FBC
	v_mul_f32_e32 v168, v188, v168                             // 000000004AD8: 0B5151BC
	v_mul_f32_e32 v169, v188, v169                             // 000000004ADC: 0B5353BC
	v_mul_f32_e32 v170, v188, v170                             // 000000004AE0: 0B5555BC
	v_mul_f32_e32 v171, v188, v171                             // 000000004AE4: 0B5757BC
	v_mul_f32_e32 v172, v188, v172                             // 000000004AE8: 0B5959BC
	v_mul_f32_e32 v173, v188, v173                             // 000000004AEC: 0B5B5BBC
	v_mul_f32_e32 v174, v188, v174                             // 000000004AF0: 0B5D5DBC
	v_mul_f32_e32 v175, v188, v175                             // 000000004AF4: 0B5F5FBC
	v_mul_f32_e32 v176, v188, v176                             // 000000004AF8: 0B6161BC
	v_mul_f32_e32 v177, v188, v177                             // 000000004AFC: 0B6363BC
	v_mul_f32_e32 v178, v188, v178                             // 000000004B00: 0B6565BC
	v_mul_f32_e32 v179, v188, v179                             // 000000004B04: 0B6767BC
	v_mov_b32_e32 v189, v188                                   // 000000004B08: 7F7A03BC
	s_barrier                                                  // 000000004B0C: BF8A0000
	v_cvt_pk_fp8_f32 v52, v52, v53                             // 000000004B10: D2A20034 00026B34
	v_cvt_pk_fp8_f32 v52, v54, v55 op_sel:[0,0,1]              // 000000004B18: D2A24034 00026F36
	v_cvt_pk_fp8_f32 v53, v56, v57                             // 000000004B20: D2A20035 00027338
	v_cvt_pk_fp8_f32 v53, v58, v59 op_sel:[0,0,1]              // 000000004B28: D2A24035 0002773A
	v_cvt_pk_fp8_f32 v54, v60, v61                             // 000000004B30: D2A20036 00027B3C
	v_cvt_pk_fp8_f32 v54, v62, v63 op_sel:[0,0,1]              // 000000004B38: D2A24036 00027F3E
	v_cvt_pk_fp8_f32 v55, v64, v65                             // 000000004B40: D2A20037 00028340
	v_cvt_pk_fp8_f32 v55, v66, v67 op_sel:[0,0,1]              // 000000004B48: D2A24037 00028742
	v_cvt_pk_fp8_f32 v56, v68, v69                             // 000000004B50: D2A20038 00028B44
	v_cvt_pk_fp8_f32 v56, v70, v71 op_sel:[0,0,1]              // 000000004B58: D2A24038 00028F46
	v_cvt_pk_fp8_f32 v57, v72, v73                             // 000000004B60: D2A20039 00029348
	v_cvt_pk_fp8_f32 v57, v74, v75 op_sel:[0,0,1]              // 000000004B68: D2A24039 0002974A
	v_cvt_pk_fp8_f32 v58, v76, v77                             // 000000004B70: D2A2003A 00029B4C
	v_cvt_pk_fp8_f32 v58, v78, v79 op_sel:[0,0,1]              // 000000004B78: D2A2403A 00029F4E
	v_cvt_pk_fp8_f32 v59, v80, v81                             // 000000004B80: D2A2003B 0002A350
	v_cvt_pk_fp8_f32 v59, v82, v83 op_sel:[0,0,1]              // 000000004B88: D2A2403B 0002A752
	v_cvt_pk_fp8_f32 v60, v84, v85                             // 000000004B90: D2A2003C 0002AB54
	v_cvt_pk_fp8_f32 v60, v86, v87 op_sel:[0,0,1]              // 000000004B98: D2A2403C 0002AF56
	v_cvt_pk_fp8_f32 v61, v88, v89                             // 000000004BA0: D2A2003D 0002B358
	v_cvt_pk_fp8_f32 v61, v90, v91 op_sel:[0,0,1]              // 000000004BA8: D2A2403D 0002B75A
	v_cvt_pk_fp8_f32 v62, v92, v93                             // 000000004BB0: D2A2003E 0002BB5C
	v_cvt_pk_fp8_f32 v62, v94, v95 op_sel:[0,0,1]              // 000000004BB8: D2A2403E 0002BF5E
	v_cvt_pk_fp8_f32 v63, v96, v97                             // 000000004BC0: D2A2003F 0002C360
	v_cvt_pk_fp8_f32 v63, v98, v99 op_sel:[0,0,1]              // 000000004BC8: D2A2403F 0002C762
	v_cvt_pk_fp8_f32 v64, v100, v101                           // 000000004BD0: D2A20040 0002CB64
	v_cvt_pk_fp8_f32 v64, v102, v103 op_sel:[0,0,1]            // 000000004BD8: D2A24040 0002CF66
	v_cvt_pk_fp8_f32 v65, v104, v105                           // 000000004BE0: D2A20041 0002D368
	v_cvt_pk_fp8_f32 v65, v106, v107 op_sel:[0,0,1]            // 000000004BE8: D2A24041 0002D76A
	v_cvt_pk_fp8_f32 v66, v108, v109                           // 000000004BF0: D2A20042 0002DB6C
	v_cvt_pk_fp8_f32 v66, v110, v111 op_sel:[0,0,1]            // 000000004BF8: D2A24042 0002DF6E
	v_cvt_pk_fp8_f32 v67, v112, v113                           // 000000004C00: D2A20043 0002E370
	v_cvt_pk_fp8_f32 v67, v114, v115 op_sel:[0,0,1]            // 000000004C08: D2A24043 0002E772
	s_barrier                                                  // 000000004C10: BF8A0000
	s_waitcnt vmcnt(0)                                         // 000000004C14: BF8C0F70
	s_waitcnt lgkmcnt(8)                                       // 000000004C18: BF8CC87F
	s_setprio 1                                                // 000000004C1C: BF8F0001
	s_barrier                                                  // 000000004C20: BF8A0000
	v_mfma_f32_32x32x64_f8f6f4 v[116:131], v[20:27], v[52:59], v[116:131]// 000000004C24: D3AE0074 05D26914
	ds_read_b64_tr_b8 v[36:37], v219 offset:32                 // 000000004C2C: D9C40020 240000DB
	ds_read_b64_tr_b8 v[38:39], v219 offset:288                // 000000004C34: D9C40120 260000DB
	ds_read_b64_tr_b8 v[40:41], v219 offset:544                // 000000004C3C: D9C40220 280000DB
	ds_read_b64_tr_b8 v[42:43], v219 offset:800                // 000000004C44: D9C40320 2A0000DB
	s_waitcnt lgkmcnt(8)                                       // 000000004C4C: BF8CC87F
	v_mfma_f32_32x32x64_f8f6f4 v[116:131], v[28:35], v[60:67], v[116:131]// 000000004C50: D3AE0074 05D2791C
	ds_read_b64_tr_b8 v[44:45], v219 offset:8352               // 000000004C58: D9C420A0 2C0000DB
	ds_read_b64_tr_b8 v[46:47], v219 offset:8608               // 000000004C60: D9C421A0 2E0000DB
	ds_read_b64_tr_b8 v[48:49], v219 offset:8864               // 000000004C68: D9C422A0 300000DB
	ds_read_b64_tr_b8 v[50:51], v219 offset:9120               // 000000004C70: D9C423A0 320000DB
	s_waitcnt lgkmcnt(8)                                       // 000000004C78: BF8CC87F
	v_mfma_f32_32x32x64_f8f6f4 v[132:147], v[36:43], v[52:59], v[132:147]// 000000004C7C: D3AE0084 06126924
	ds_read_b64_tr_b8 v[20:21], v219 offset:64                 // 000000004C84: D9C40040 140000DB
	ds_read_b64_tr_b8 v[22:23], v219 offset:320                // 000000004C8C: D9C40140 160000DB
	ds_read_b64_tr_b8 v[24:25], v219 offset:576                // 000000004C94: D9C40240 180000DB
	ds_read_b64_tr_b8 v[26:27], v219 offset:832                // 000000004C9C: D9C40340 1A0000DB
	s_waitcnt lgkmcnt(8)                                       // 000000004CA4: BF8CC87F
	v_mfma_f32_32x32x64_f8f6f4 v[132:147], v[44:51], v[60:67], v[132:147]// 000000004CA8: D3AE0084 0612792C
	ds_read_b64_tr_b8 v[28:29], v219 offset:8384               // 000000004CB0: D9C420C0 1C0000DB
	ds_read_b64_tr_b8 v[30:31], v219 offset:8640               // 000000004CB8: D9C421C0 1E0000DB
	ds_read_b64_tr_b8 v[32:33], v219 offset:8896               // 000000004CC0: D9C422C0 200000DB
	ds_read_b64_tr_b8 v[34:35], v219 offset:9152               // 000000004CC8: D9C423C0 220000DB
	s_waitcnt lgkmcnt(8)                                       // 000000004CD0: BF8CC87F
	v_mfma_f32_32x32x64_f8f6f4 v[148:163], v[20:27], v[52:59], v[148:163]// 000000004CD4: D3AE0094 06526914
	ds_read_b64_tr_b8 v[36:37], v219 offset:96                 // 000000004CDC: D9C40060 240000DB
	ds_read_b64_tr_b8 v[38:39], v219 offset:352                // 000000004CE4: D9C40160 260000DB
	ds_read_b64_tr_b8 v[40:41], v219 offset:608                // 000000004CEC: D9C40260 280000DB
	ds_read_b64_tr_b8 v[42:43], v219 offset:864                // 000000004CF4: D9C40360 2A0000DB
	s_waitcnt lgkmcnt(8)                                       // 000000004CFC: BF8CC87F
	v_mfma_f32_32x32x64_f8f6f4 v[148:163], v[28:35], v[60:67], v[148:163]// 000000004D00: D3AE0094 0652791C
	ds_read_b64_tr_b8 v[44:45], v219 offset:8416               // 000000004D08: D9C420E0 2C0000DB
	ds_read_b64_tr_b8 v[46:47], v219 offset:8672               // 000000004D10: D9C421E0 2E0000DB
	ds_read_b64_tr_b8 v[48:49], v219 offset:8928               // 000000004D18: D9C422E0 300000DB
	ds_read_b64_tr_b8 v[50:51], v219 offset:9184               // 000000004D20: D9C423E0 320000DB
	s_waitcnt lgkmcnt(8)                                       // 000000004D28: BF8CC87F
	v_mfma_f32_32x32x64_f8f6f4 v[164:179], v[36:43], v[52:59], v[164:179]// 000000004D2C: D3AE00A4 06926924
	ds_read_b128 v[20:23], v218 offset:16640                   // 000000004D34: D9FE4100 140000DA
	ds_read_b128 v[24:27], v218 offset:16672                   // 000000004D3C: D9FE4120 180000DA
	s_waitcnt lgkmcnt(6)                                       // 000000004D44: BF8CC67F
	v_mfma_f32_32x32x64_f8f6f4 v[164:179], v[44:51], v[60:67], v[164:179]// 000000004D48: D3AE00A4 0692792C
	ds_read_b128 v[28:31], v218 offset:20800                   // 000000004D50: D9FE5140 1C0000DA
	ds_read_b128 v[32:35], v218 offset:20832                   // 000000004D58: D9FE5160 200000DA
	s_addk_i32 s68, 0x80                                       // 000000004D60: B7440080
	s_cmp_lt_i32 s68, s69                                      // 000000004D64: BF044544
	s_cbranch_scc0 label_3C8C                                  // 000000004D68: BF840AC8
	s_waitcnt lgkmcnt(2)                                       // 000000004D6C: BF8CC27F
	v_mfma_f32_32x32x64_f8f6f4 v[52:67], v[20:27], v[4:11], 0  // 000000004D70: D3AE0034 02020914
	v_mul_i32_i24_dpp v184, v180, v222 quad_perm:[0,0,0,0] row_mask:0xf bank_mask:0xf// 000000004D78: 0D71BCFA FF0000B4
	v_mul_i32_i24_dpp v185, v180, v222 quad_perm:[1,1,1,1] row_mask:0xf bank_mask:0xf// 000000004D80: 0D73BCFA FF0055B4
	v_add_u32_e32 v211, v210, v184                             // 000000004D88: 69A771D2
	v_add_u32_e32 v212, v210, v185                             // 000000004D8C: 69A973D2
	ds_read_b128 v[36:39], v218 offset:17152                   // 000000004D90: D9FE4300 240000DA
	ds_read_b128 v[40:43], v218 offset:17184                   // 000000004D98: D9FE4320 280000DA
	s_waitcnt lgkmcnt(2)                                       // 000000004DA0: BF8CC27F
	v_mfma_f32_32x32x64_f8f6f4 v[52:67], v[28:35], v[12:19], v[52:67]// 000000004DA4: D3AE0034 04D2191C
	s_add_u32 m0, s71, 0                                       // 000000004DAC: 807C8047
	buffer_load_dwordx4 v211, s[12:15], 0 offen lds            // 000000004DB0: E05D1000 800300D3
	ds_read_b128 v[44:47], v218 offset:21312                   // 000000004DB8: D9FE5340 2C0000DA
	ds_read_b128 v[48:51], v218 offset:21344                   // 000000004DC0: D9FE5360 300000DA
	s_waitcnt lgkmcnt(2)                                       // 000000004DC8: BF8CC27F
	v_mfma_f32_32x32x64_f8f6f4 v[68:83], v[36:43], v[4:11], 0  // 000000004DCC: D3AE0044 02020924
	s_add_u32 m0, s71, 0x410                                   // 000000004DD4: 807CFF47 00000410
	buffer_load_dwordx4 v212, s[12:15], 0 offen lds            // 000000004DDC: E05D1000 800300D4
	ds_read_b128 v[20:23], v218 offset:24960                   // 000000004DE4: D9FE6180 140000DA
	ds_read_b128 v[24:27], v218 offset:24992                   // 000000004DEC: D9FE61A0 180000DA
	s_waitcnt lgkmcnt(2)                                       // 000000004DF4: BF8CC27F
	v_mfma_f32_32x32x64_f8f6f4 v[68:83], v[44:51], v[12:19], v[68:83]// 000000004DF8: D3AE0044 0512192C
	s_add_u32 m0, s71, 0x1000                                  // 000000004E00: 807CFF47 00001000
	buffer_load_dwordx4 v211, s[12:15], 0 offen offset:64 lds  // 000000004E08: E05D1040 800300D3
	ds_read_b128 v[28:31], v218 offset:29120                   // 000000004E10: D9FE71C0 1C0000DA
	ds_read_b128 v[32:35], v218 offset:29152                   // 000000004E18: D9FE71E0 200000DA
	s_waitcnt lgkmcnt(2)                                       // 000000004E20: BF8CC27F
	v_mfma_f32_32x32x64_f8f6f4 v[84:99], v[20:27], v[4:11], 0  // 000000004E24: D3AE0054 02020914
	s_add_u32 m0, s71, 0x1410                                  // 000000004E2C: 807CFF47 00001410
	buffer_load_dwordx4 v212, s[12:15], 0 offen offset:64 lds  // 000000004E34: E05D1040 800300D4
	ds_read_b128 v[36:39], v218 offset:25472                   // 000000004E3C: D9FE6380 240000DA
	ds_read_b128 v[40:43], v218 offset:25504                   // 000000004E44: D9FE63A0 280000DA
	s_waitcnt lgkmcnt(2)                                       // 000000004E4C: BF8CC27F
	v_mfma_f32_32x32x64_f8f6f4 v[84:99], v[28:35], v[12:19], v[84:99]// 000000004E50: D3AE0054 0552191C
	ds_read_b128 v[44:47], v218 offset:29632                   // 000000004E58: D9FE73C0 2C0000DA
	ds_read_b128 v[48:51], v218 offset:29664                   // 000000004E60: D9FE73E0 300000DA
	s_waitcnt lgkmcnt(2)                                       // 000000004E68: BF8CC27F
	v_mfma_f32_32x32x64_f8f6f4 v[100:115], v[36:43], v[4:11], 0// 000000004E6C: D3AE0064 02020924
	s_barrier                                                  // 000000004E74: BF8A0000
	ds_read_b64_tr_b8 v[20:21], v219 offset:16640              // 000000004E78: D9C44100 140000DB
	ds_read_b64_tr_b8 v[22:23], v219 offset:16896              // 000000004E80: D9C44200 160000DB
	ds_read_b64_tr_b8 v[24:25], v219 offset:17152              // 000000004E88: D9C44300 180000DB
	ds_read_b64_tr_b8 v[26:27], v219 offset:17408              // 000000004E90: D9C44400 1A0000DB
	s_waitcnt lgkmcnt(4)                                       // 000000004E98: BF8CC47F
	v_mfma_f32_32x32x64_f8f6f4 v[100:115], v[44:51], v[12:19], v[100:115]// 000000004E9C: D3AE0064 0592192C
	ds_read_b64_tr_b8 v[28:29], v219 offset:24960              // 000000004EA4: D9C46180 1C0000DB
	ds_read_b64_tr_b8 v[30:31], v219 offset:25216              // 000000004EAC: D9C46280 1E0000DB
	ds_read_b64_tr_b8 v[32:33], v219 offset:25472              // 000000004EB4: D9C46380 200000DB
	ds_read_b64_tr_b8 v[34:35], v219 offset:25728              // 000000004EBC: D9C46480 220000DB
	s_nop 5                                                    // 000000004EC4: BF800005
	s_barrier                                                  // 000000004EC8: BF8A0000
	s_setprio 0                                                // 000000004ECC: BF8F0000
	s_barrier                                                  // 000000004ED0: BF8A0000
	v_mov_b32_e32 v193, v192                                   // 000000004ED4: 7F8203C0
	v_max3_f32 v193, v52, v53, v193                            // 000000004ED8: D1D300C1 07066B34
	v_max3_f32 v193, v54, v55, v193                            // 000000004EE0: D1D300C1 07066F36
	v_max3_f32 v193, v56, v57, v193                            // 000000004EE8: D1D300C1 07067338
	v_max3_f32 v193, v58, v59, v193                            // 000000004EF0: D1D300C1 0706773A
	v_max3_f32 v193, v60, v61, v193                            // 000000004EF8: D1D300C1 07067B3C
	v_max3_f32 v193, v62, v63, v193                            // 000000004F00: D1D300C1 07067F3E
	v_max3_f32 v193, v64, v65, v193                            // 000000004F08: D1D300C1 07068340
	v_max3_f32 v193, v66, v67, v193                            // 000000004F10: D1D300C1 07068742
	v_max3_f32 v193, v68, v69, v193                            // 000000004F18: D1D300C1 07068B44
	v_max3_f32 v193, v70, v71, v193                            // 000000004F20: D1D300C1 07068F46
	v_max3_f32 v193, v72, v73, v193                            // 000000004F28: D1D300C1 07069348
	v_max3_f32 v193, v74, v75, v193                            // 000000004F30: D1D300C1 0706974A
	v_max3_f32 v193, v76, v77, v193                            // 000000004F38: D1D300C1 07069B4C
	v_max3_f32 v193, v78, v79, v193                            // 000000004F40: D1D300C1 07069F4E
	v_max3_f32 v193, v80, v81, v193                            // 000000004F48: D1D300C1 0706A350
	v_max3_f32 v193, v82, v83, v193                            // 000000004F50: D1D300C1 0706A752
	v_max3_f32 v193, v84, v85, v193                            // 000000004F58: D1D300C1 0706AB54
	v_max3_f32 v193, v86, v87, v193                            // 000000004F60: D1D300C1 0706AF56
	v_max3_f32 v193, v88, v89, v193                            // 000000004F68: D1D300C1 0706B358
	v_max3_f32 v193, v90, v91, v193                            // 000000004F70: D1D300C1 0706B75A
	v_max3_f32 v193, v92, v93, v193                            // 000000004F78: D1D300C1 0706BB5C
	v_max3_f32 v193, v94, v95, v193                            // 000000004F80: D1D300C1 0706BF5E
	v_max3_f32 v193, v96, v97, v193                            // 000000004F88: D1D300C1 0706C360
	v_max3_f32 v193, v98, v99, v193                            // 000000004F90: D1D300C1 0706C762
	v_max3_f32 v193, v100, v101, v193                          // 000000004F98: D1D300C1 0706CB64
	v_max3_f32 v193, v102, v103, v193                          // 000000004FA0: D1D300C1 0706CF66
	v_max3_f32 v193, v104, v105, v193                          // 000000004FA8: D1D300C1 0706D368
	v_max3_f32 v193, v106, v107, v193                          // 000000004FB0: D1D300C1 0706D76A
	v_max3_f32 v193, v108, v109, v193                          // 000000004FB8: D1D300C1 0706DB6C
	v_max3_f32 v193, v110, v111, v193                          // 000000004FC0: D1D300C1 0706DF6E
	v_max3_f32 v193, v112, v113, v193                          // 000000004FC8: D1D300C1 0706E370
	v_max3_f32 v193, v114, v115, v193                          // 000000004FD0: D1D300C1 0706E772
	v_mov_b32_e32 v184, v193                                   // 000000004FD8: 7F7003C1
	s_nop 1                                                    // 000000004FDC: BF800001
	s_nop 0                                                    // 000000004FE0: BF800000
	v_permlane32_swap_b32_e32 v184, v193                       // 000000004FE4: 7F70B5C1
	v_max_f32_e32 v193, v193, v184                             // 000000004FE8: 178371C1
	v_cmp_eq_u32_e64 s[66:67], v197, v193                      // 000000004FEC: D0CA0042 000383C5
	s_nop 0                                                    // 000000004FF4: BF800000
	v_cndmask_b32_e64 v193, v193, 0, s[66:67]                  // 000000004FF8: D10000C1 010901C1
	v_mul_f32_e64 v184, -s26, v193                             // 000000005000: D10500B8 2003821A
	v_mov_b32_e32 v185, v184                                   // 000000005008: 7F7203B8
	v_pk_fma_f32 v[52:53], v[52:53], s[26:27], v[184:185]      // 00000000500C: D3B04034 1EE03534
	v_pk_fma_f32 v[54:55], v[54:55], s[26:27], v[184:185]      // 000000005014: D3B04036 1EE03536
	v_pk_fma_f32 v[56:57], v[56:57], s[26:27], v[184:185]      // 00000000501C: D3B04038 1EE03538
	v_pk_fma_f32 v[58:59], v[58:59], s[26:27], v[184:185]      // 000000005024: D3B0403A 1EE0353A
	v_pk_fma_f32 v[60:61], v[60:61], s[26:27], v[184:185]      // 00000000502C: D3B0403C 1EE0353C
	v_pk_fma_f32 v[62:63], v[62:63], s[26:27], v[184:185]      // 000000005034: D3B0403E 1EE0353E
	v_pk_fma_f32 v[64:65], v[64:65], s[26:27], v[184:185]      // 00000000503C: D3B04040 1EE03540
	v_pk_fma_f32 v[66:67], v[66:67], s[26:27], v[184:185]      // 000000005044: D3B04042 1EE03542
	v_pk_fma_f32 v[68:69], v[68:69], s[26:27], v[184:185]      // 00000000504C: D3B04044 1EE03544
	v_pk_fma_f32 v[70:71], v[70:71], s[26:27], v[184:185]      // 000000005054: D3B04046 1EE03546
	v_pk_fma_f32 v[72:73], v[72:73], s[26:27], v[184:185]      // 00000000505C: D3B04048 1EE03548
	v_pk_fma_f32 v[74:75], v[74:75], s[26:27], v[184:185]      // 000000005064: D3B0404A 1EE0354A
	v_pk_fma_f32 v[76:77], v[76:77], s[26:27], v[184:185]      // 00000000506C: D3B0404C 1EE0354C
	v_pk_fma_f32 v[78:79], v[78:79], s[26:27], v[184:185]      // 000000005074: D3B0404E 1EE0354E
	v_pk_fma_f32 v[80:81], v[80:81], s[26:27], v[184:185]      // 00000000507C: D3B04050 1EE03550
	v_pk_fma_f32 v[82:83], v[82:83], s[26:27], v[184:185]      // 000000005084: D3B04052 1EE03552
	v_pk_fma_f32 v[84:85], v[84:85], s[26:27], v[184:185]      // 00000000508C: D3B04054 1EE03554
	v_pk_fma_f32 v[86:87], v[86:87], s[26:27], v[184:185]      // 000000005094: D3B04056 1EE03556
	v_pk_fma_f32 v[88:89], v[88:89], s[26:27], v[184:185]      // 00000000509C: D3B04058 1EE03558
	v_pk_fma_f32 v[90:91], v[90:91], s[26:27], v[184:185]      // 0000000050A4: D3B0405A 1EE0355A
	v_pk_fma_f32 v[92:93], v[92:93], s[26:27], v[184:185]      // 0000000050AC: D3B0405C 1EE0355C
	v_pk_fma_f32 v[94:95], v[94:95], s[26:27], v[184:185]      // 0000000050B4: D3B0405E 1EE0355E
	v_pk_fma_f32 v[96:97], v[96:97], s[26:27], v[184:185]      // 0000000050BC: D3B04060 1EE03560
	v_pk_fma_f32 v[98:99], v[98:99], s[26:27], v[184:185]      // 0000000050C4: D3B04062 1EE03562
	v_pk_fma_f32 v[100:101], v[100:101], s[26:27], v[184:185]  // 0000000050CC: D3B04064 1EE03564
	v_pk_fma_f32 v[102:103], v[102:103], s[26:27], v[184:185]  // 0000000050D4: D3B04066 1EE03566
	v_pk_fma_f32 v[104:105], v[104:105], s[26:27], v[184:185]  // 0000000050DC: D3B04068 1EE03568
	v_pk_fma_f32 v[106:107], v[106:107], s[26:27], v[184:185]  // 0000000050E4: D3B0406A 1EE0356A
	v_pk_fma_f32 v[108:109], v[108:109], s[26:27], v[184:185]  // 0000000050EC: D3B0406C 1EE0356C
	v_pk_fma_f32 v[110:111], v[110:111], s[26:27], v[184:185]  // 0000000050F4: D3B0406E 1EE0356E
	v_pk_fma_f32 v[112:113], v[112:113], s[26:27], v[184:185]  // 0000000050FC: D3B04070 1EE03570
	v_pk_fma_f32 v[114:115], v[114:115], s[26:27], v[184:185]  // 000000005104: D3B04072 1EE03572
	s_barrier                                                  // 00000000510C: BF8A0000
	v_exp_f32_e32 v52, v52                                     // 000000005110: 7E684134
	v_exp_f32_e32 v53, v53                                     // 000000005114: 7E6A4135
	v_exp_f32_e32 v54, v54                                     // 000000005118: 7E6C4136
	v_exp_f32_e32 v55, v55                                     // 00000000511C: 7E6E4137
	v_exp_f32_e32 v56, v56                                     // 000000005120: 7E704138
	v_exp_f32_e32 v57, v57                                     // 000000005124: 7E724139
	v_exp_f32_e32 v58, v58                                     // 000000005128: 7E74413A
	v_exp_f32_e32 v59, v59                                     // 00000000512C: 7E76413B
	v_exp_f32_e32 v60, v60                                     // 000000005130: 7E78413C
	v_exp_f32_e32 v61, v61                                     // 000000005134: 7E7A413D
	v_exp_f32_e32 v62, v62                                     // 000000005138: 7E7C413E
	v_exp_f32_e32 v63, v63                                     // 00000000513C: 7E7E413F
	v_exp_f32_e32 v64, v64                                     // 000000005140: 7E804140
	v_exp_f32_e32 v65, v65                                     // 000000005144: 7E824141
	v_exp_f32_e32 v66, v66                                     // 000000005148: 7E844142
	v_exp_f32_e32 v67, v67                                     // 00000000514C: 7E864143
	v_exp_f32_e32 v68, v68                                     // 000000005150: 7E884144
	v_exp_f32_e32 v69, v69                                     // 000000005154: 7E8A4145
	v_exp_f32_e32 v70, v70                                     // 000000005158: 7E8C4146
	v_exp_f32_e32 v71, v71                                     // 00000000515C: 7E8E4147
	v_exp_f32_e32 v72, v72                                     // 000000005160: 7E904148
	v_exp_f32_e32 v73, v73                                     // 000000005164: 7E924149
	v_exp_f32_e32 v74, v74                                     // 000000005168: 7E94414A
	v_exp_f32_e32 v75, v75                                     // 00000000516C: 7E96414B
	v_exp_f32_e32 v76, v76                                     // 000000005170: 7E98414C
	v_exp_f32_e32 v77, v77                                     // 000000005174: 7E9A414D
	v_exp_f32_e32 v78, v78                                     // 000000005178: 7E9C414E
	v_exp_f32_e32 v79, v79                                     // 00000000517C: 7E9E414F
	v_exp_f32_e32 v80, v80                                     // 000000005180: 7EA04150
	v_exp_f32_e32 v81, v81                                     // 000000005184: 7EA24151
	v_exp_f32_e32 v82, v82                                     // 000000005188: 7EA44152
	v_exp_f32_e32 v83, v83                                     // 00000000518C: 7EA64153
	v_exp_f32_e32 v84, v84                                     // 000000005190: 7EA84154
	v_exp_f32_e32 v85, v85                                     // 000000005194: 7EAA4155
	v_exp_f32_e32 v86, v86                                     // 000000005198: 7EAC4156
	v_exp_f32_e32 v87, v87                                     // 00000000519C: 7EAE4157
	v_exp_f32_e32 v88, v88                                     // 0000000051A0: 7EB04158
	v_exp_f32_e32 v89, v89                                     // 0000000051A4: 7EB24159
	v_exp_f32_e32 v90, v90                                     // 0000000051A8: 7EB4415A
	v_exp_f32_e32 v91, v91                                     // 0000000051AC: 7EB6415B
	v_exp_f32_e32 v92, v92                                     // 0000000051B0: 7EB8415C
	v_exp_f32_e32 v93, v93                                     // 0000000051B4: 7EBA415D
	v_exp_f32_e32 v94, v94                                     // 0000000051B8: 7EBC415E
	v_exp_f32_e32 v95, v95                                     // 0000000051BC: 7EBE415F
	v_exp_f32_e32 v96, v96                                     // 0000000051C0: 7EC04160
	v_exp_f32_e32 v97, v97                                     // 0000000051C4: 7EC24161
	v_exp_f32_e32 v98, v98                                     // 0000000051C8: 7EC44162
	v_exp_f32_e32 v99, v99                                     // 0000000051CC: 7EC64163
	v_exp_f32_e32 v100, v100                                   // 0000000051D0: 7EC84164
	v_exp_f32_e32 v101, v101                                   // 0000000051D4: 7ECA4165
	v_exp_f32_e32 v102, v102                                   // 0000000051D8: 7ECC4166
	v_exp_f32_e32 v103, v103                                   // 0000000051DC: 7ECE4167
	v_exp_f32_e32 v104, v104                                   // 0000000051E0: 7ED04168
	v_exp_f32_e32 v105, v105                                   // 0000000051E4: 7ED24169
	v_exp_f32_e32 v106, v106                                   // 0000000051E8: 7ED4416A
	v_exp_f32_e32 v107, v107                                   // 0000000051EC: 7ED6416B
	v_exp_f32_e32 v108, v108                                   // 0000000051F0: 7ED8416C
	v_exp_f32_e32 v109, v109                                   // 0000000051F4: 7EDA416D
	v_exp_f32_e32 v110, v110                                   // 0000000051F8: 7EDC416E
	v_exp_f32_e32 v111, v111                                   // 0000000051FC: 7EDE416F
	v_exp_f32_e32 v112, v112                                   // 000000005200: 7EE04170
	v_exp_f32_e32 v113, v113                                   // 000000005204: 7EE24171
	v_exp_f32_e32 v114, v114                                   // 000000005208: 7EE44172
	v_exp_f32_e32 v115, v115                                   // 00000000520C: 7EE64173
	v_sub_f32_e32 v188, v192, v193                             // 000000005210: 057983C0
	v_cmp_eq_u32_e64 s[66:67], v197, v192                      // 000000005214: D0CA0042 000381C5
	s_nop 0                                                    // 00000000521C: BF800000
	v_cndmask_b32_e64 v188, v188, 0, s[66:67]                  // 000000005220: D10000BC 010901BC
	v_mov_b32_e32 v192, v193                                   // 000000005228: 7F8003C1
	v_mul_f32_e32 v188, s26, v188                              // 00000000522C: 0B79781A
	v_exp_f32_e32 v188, v188                                   // 000000005230: 7F7841BC
	s_nop 0                                                    // 000000005234: BF800000
	v_mul_f32_e32 v190, v188, v190                             // 000000005238: 0B7D7DBC
	v_add_f32_e32 v190, v52, v190                              // 00000000523C: 037D7D34
	v_add_f32_e32 v190, v53, v190                              // 000000005240: 037D7D35
	v_add_f32_e32 v190, v54, v190                              // 000000005244: 037D7D36
	v_add_f32_e32 v190, v55, v190                              // 000000005248: 037D7D37
	v_add_f32_e32 v190, v56, v190                              // 00000000524C: 037D7D38
	v_add_f32_e32 v190, v57, v190                              // 000000005250: 037D7D39
	v_add_f32_e32 v190, v58, v190                              // 000000005254: 037D7D3A
	v_add_f32_e32 v190, v59, v190                              // 000000005258: 037D7D3B
	v_add_f32_e32 v190, v60, v190                              // 00000000525C: 037D7D3C
	v_add_f32_e32 v190, v61, v190                              // 000000005260: 037D7D3D
	v_add_f32_e32 v190, v62, v190                              // 000000005264: 037D7D3E
	v_add_f32_e32 v190, v63, v190                              // 000000005268: 037D7D3F
	v_add_f32_e32 v190, v64, v190                              // 00000000526C: 037D7D40
	v_add_f32_e32 v190, v65, v190                              // 000000005270: 037D7D41
	v_add_f32_e32 v190, v66, v190                              // 000000005274: 037D7D42
	v_add_f32_e32 v190, v67, v190                              // 000000005278: 037D7D43
	v_add_f32_e32 v190, v68, v190                              // 00000000527C: 037D7D44
	v_add_f32_e32 v190, v69, v190                              // 000000005280: 037D7D45
	v_add_f32_e32 v190, v70, v190                              // 000000005284: 037D7D46
	v_add_f32_e32 v190, v71, v190                              // 000000005288: 037D7D47
	v_add_f32_e32 v190, v72, v190                              // 00000000528C: 037D7D48
	v_add_f32_e32 v190, v73, v190                              // 000000005290: 037D7D49
	v_add_f32_e32 v190, v74, v190                              // 000000005294: 037D7D4A
	v_add_f32_e32 v190, v75, v190                              // 000000005298: 037D7D4B
	v_add_f32_e32 v190, v76, v190                              // 00000000529C: 037D7D4C
	v_add_f32_e32 v190, v77, v190                              // 0000000052A0: 037D7D4D
	v_add_f32_e32 v190, v78, v190                              // 0000000052A4: 037D7D4E
	v_add_f32_e32 v190, v79, v190                              // 0000000052A8: 037D7D4F
	v_add_f32_e32 v190, v80, v190                              // 0000000052AC: 037D7D50
	v_add_f32_e32 v190, v81, v190                              // 0000000052B0: 037D7D51
	v_add_f32_e32 v190, v82, v190                              // 0000000052B4: 037D7D52
	v_add_f32_e32 v190, v83, v190                              // 0000000052B8: 037D7D53
	v_add_f32_e32 v190, v84, v190                              // 0000000052BC: 037D7D54
	v_add_f32_e32 v190, v85, v190                              // 0000000052C0: 037D7D55
	v_add_f32_e32 v190, v86, v190                              // 0000000052C4: 037D7D56
	v_add_f32_e32 v190, v87, v190                              // 0000000052C8: 037D7D57
	v_add_f32_e32 v190, v88, v190                              // 0000000052CC: 037D7D58
	v_add_f32_e32 v190, v89, v190                              // 0000000052D0: 037D7D59
	v_add_f32_e32 v190, v90, v190                              // 0000000052D4: 037D7D5A
	v_add_f32_e32 v190, v91, v190                              // 0000000052D8: 037D7D5B
	v_add_f32_e32 v190, v92, v190                              // 0000000052DC: 037D7D5C
	v_add_f32_e32 v190, v93, v190                              // 0000000052E0: 037D7D5D
	v_add_f32_e32 v190, v94, v190                              // 0000000052E4: 037D7D5E
	v_add_f32_e32 v190, v95, v190                              // 0000000052E8: 037D7D5F
	v_add_f32_e32 v190, v96, v190                              // 0000000052EC: 037D7D60
	v_add_f32_e32 v190, v97, v190                              // 0000000052F0: 037D7D61
	v_add_f32_e32 v190, v98, v190                              // 0000000052F4: 037D7D62
	v_add_f32_e32 v190, v99, v190                              // 0000000052F8: 037D7D63
	v_add_f32_e32 v190, v100, v190                             // 0000000052FC: 037D7D64
	v_add_f32_e32 v190, v101, v190                             // 000000005300: 037D7D65
	v_add_f32_e32 v190, v102, v190                             // 000000005304: 037D7D66
	v_add_f32_e32 v190, v103, v190                             // 000000005308: 037D7D67
	v_add_f32_e32 v190, v104, v190                             // 00000000530C: 037D7D68
	v_add_f32_e32 v190, v105, v190                             // 000000005310: 037D7D69
	v_add_f32_e32 v190, v106, v190                             // 000000005314: 037D7D6A
	v_add_f32_e32 v190, v107, v190                             // 000000005318: 037D7D6B
	v_add_f32_e32 v190, v108, v190                             // 00000000531C: 037D7D6C
	v_add_f32_e32 v190, v109, v190                             // 000000005320: 037D7D6D
	v_add_f32_e32 v190, v110, v190                             // 000000005324: 037D7D6E
	v_add_f32_e32 v190, v111, v190                             // 000000005328: 037D7D6F
	v_add_f32_e32 v190, v112, v190                             // 00000000532C: 037D7D70
	v_add_f32_e32 v190, v113, v190                             // 000000005330: 037D7D71
	v_add_f32_e32 v190, v114, v190                             // 000000005334: 037D7D72
	v_add_f32_e32 v190, v115, v190                             // 000000005338: 037D7D73
	v_mul_f32_e32 v116, v188, v116                             // 00000000533C: 0AE8E9BC
	v_mul_f32_e32 v117, v188, v117                             // 000000005340: 0AEAEBBC
	v_mul_f32_e32 v118, v188, v118                             // 000000005344: 0AECEDBC
	v_mul_f32_e32 v119, v188, v119                             // 000000005348: 0AEEEFBC
	v_mul_f32_e32 v120, v188, v120                             // 00000000534C: 0AF0F1BC
	v_mul_f32_e32 v121, v188, v121                             // 000000005350: 0AF2F3BC
	v_mul_f32_e32 v122, v188, v122                             // 000000005354: 0AF4F5BC
	v_mul_f32_e32 v123, v188, v123                             // 000000005358: 0AF6F7BC
	v_mul_f32_e32 v124, v188, v124                             // 00000000535C: 0AF8F9BC
	v_mul_f32_e32 v125, v188, v125                             // 000000005360: 0AFAFBBC
	v_mul_f32_e32 v126, v188, v126                             // 000000005364: 0AFCFDBC
	v_mul_f32_e32 v127, v188, v127                             // 000000005368: 0AFEFFBC
	v_mul_f32_e32 v128, v188, v128                             // 00000000536C: 0B0101BC
	v_mul_f32_e32 v129, v188, v129                             // 000000005370: 0B0303BC
	v_mul_f32_e32 v130, v188, v130                             // 000000005374: 0B0505BC
	v_mul_f32_e32 v131, v188, v131                             // 000000005378: 0B0707BC
	v_mul_f32_e32 v132, v188, v132                             // 00000000537C: 0B0909BC
	v_mul_f32_e32 v133, v188, v133                             // 000000005380: 0B0B0BBC
	v_mul_f32_e32 v134, v188, v134                             // 000000005384: 0B0D0DBC
	v_mul_f32_e32 v135, v188, v135                             // 000000005388: 0B0F0FBC
	v_mul_f32_e32 v136, v188, v136                             // 00000000538C: 0B1111BC
	v_mul_f32_e32 v137, v188, v137                             // 000000005390: 0B1313BC
	v_mul_f32_e32 v138, v188, v138                             // 000000005394: 0B1515BC
	v_mul_f32_e32 v139, v188, v139                             // 000000005398: 0B1717BC
	v_mul_f32_e32 v140, v188, v140                             // 00000000539C: 0B1919BC
	v_mul_f32_e32 v141, v188, v141                             // 0000000053A0: 0B1B1BBC
	v_mul_f32_e32 v142, v188, v142                             // 0000000053A4: 0B1D1DBC
	v_mul_f32_e32 v143, v188, v143                             // 0000000053A8: 0B1F1FBC
	v_mul_f32_e32 v144, v188, v144                             // 0000000053AC: 0B2121BC
	v_mul_f32_e32 v145, v188, v145                             // 0000000053B0: 0B2323BC
	v_mul_f32_e32 v146, v188, v146                             // 0000000053B4: 0B2525BC
	v_mul_f32_e32 v147, v188, v147                             // 0000000053B8: 0B2727BC
	v_mul_f32_e32 v148, v188, v148                             // 0000000053BC: 0B2929BC
	v_mul_f32_e32 v149, v188, v149                             // 0000000053C0: 0B2B2BBC
	v_mul_f32_e32 v150, v188, v150                             // 0000000053C4: 0B2D2DBC
	v_mul_f32_e32 v151, v188, v151                             // 0000000053C8: 0B2F2FBC
	v_mul_f32_e32 v152, v188, v152                             // 0000000053CC: 0B3131BC
	v_mul_f32_e32 v153, v188, v153                             // 0000000053D0: 0B3333BC
	v_mul_f32_e32 v154, v188, v154                             // 0000000053D4: 0B3535BC
	v_mul_f32_e32 v155, v188, v155                             // 0000000053D8: 0B3737BC
	v_mul_f32_e32 v156, v188, v156                             // 0000000053DC: 0B3939BC
	v_mul_f32_e32 v157, v188, v157                             // 0000000053E0: 0B3B3BBC
	v_mul_f32_e32 v158, v188, v158                             // 0000000053E4: 0B3D3DBC
	v_mul_f32_e32 v159, v188, v159                             // 0000000053E8: 0B3F3FBC
	v_mul_f32_e32 v160, v188, v160                             // 0000000053EC: 0B4141BC
	v_mul_f32_e32 v161, v188, v161                             // 0000000053F0: 0B4343BC
	v_mul_f32_e32 v162, v188, v162                             // 0000000053F4: 0B4545BC
	v_mul_f32_e32 v163, v188, v163                             // 0000000053F8: 0B4747BC
	v_mul_f32_e32 v164, v188, v164                             // 0000000053FC: 0B4949BC
	v_mul_f32_e32 v165, v188, v165                             // 000000005400: 0B4B4BBC
	v_mul_f32_e32 v166, v188, v166                             // 000000005404: 0B4D4DBC
	v_mul_f32_e32 v167, v188, v167                             // 000000005408: 0B4F4FBC
	v_mul_f32_e32 v168, v188, v168                             // 00000000540C: 0B5151BC
	v_mul_f32_e32 v169, v188, v169                             // 000000005410: 0B5353BC
	v_mul_f32_e32 v170, v188, v170                             // 000000005414: 0B5555BC
	v_mul_f32_e32 v171, v188, v171                             // 000000005418: 0B5757BC
	v_mul_f32_e32 v172, v188, v172                             // 00000000541C: 0B5959BC
	v_mul_f32_e32 v173, v188, v173                             // 000000005420: 0B5B5BBC
	v_mul_f32_e32 v174, v188, v174                             // 000000005424: 0B5D5DBC
	v_mul_f32_e32 v175, v188, v175                             // 000000005428: 0B5F5FBC
	v_mul_f32_e32 v176, v188, v176                             // 00000000542C: 0B6161BC
	v_mul_f32_e32 v177, v188, v177                             // 000000005430: 0B6363BC
	v_mul_f32_e32 v178, v188, v178                             // 000000005434: 0B6565BC
	v_mul_f32_e32 v179, v188, v179                             // 000000005438: 0B6767BC
	v_mov_b32_e32 v189, v188                                   // 00000000543C: 7F7A03BC
	s_barrier                                                  // 000000005440: BF8A0000
	v_cvt_pk_fp8_f32 v52, v52, v53                             // 000000005444: D2A20034 00026B34
	v_cvt_pk_fp8_f32 v52, v54, v55 op_sel:[0,0,1]              // 00000000544C: D2A24034 00026F36
	v_cvt_pk_fp8_f32 v53, v56, v57                             // 000000005454: D2A20035 00027338
	v_cvt_pk_fp8_f32 v53, v58, v59 op_sel:[0,0,1]              // 00000000545C: D2A24035 0002773A
	v_cvt_pk_fp8_f32 v54, v60, v61                             // 000000005464: D2A20036 00027B3C
	v_cvt_pk_fp8_f32 v54, v62, v63 op_sel:[0,0,1]              // 00000000546C: D2A24036 00027F3E
	v_cvt_pk_fp8_f32 v55, v64, v65                             // 000000005474: D2A20037 00028340
	v_cvt_pk_fp8_f32 v55, v66, v67 op_sel:[0,0,1]              // 00000000547C: D2A24037 00028742
	v_cvt_pk_fp8_f32 v56, v68, v69                             // 000000005484: D2A20038 00028B44
	v_cvt_pk_fp8_f32 v56, v70, v71 op_sel:[0,0,1]              // 00000000548C: D2A24038 00028F46
	v_cvt_pk_fp8_f32 v57, v72, v73                             // 000000005494: D2A20039 00029348
	v_cvt_pk_fp8_f32 v57, v74, v75 op_sel:[0,0,1]              // 00000000549C: D2A24039 0002974A
	v_cvt_pk_fp8_f32 v58, v76, v77                             // 0000000054A4: D2A2003A 00029B4C
	v_cvt_pk_fp8_f32 v58, v78, v79 op_sel:[0,0,1]              // 0000000054AC: D2A2403A 00029F4E
	v_cvt_pk_fp8_f32 v59, v80, v81                             // 0000000054B4: D2A2003B 0002A350
	v_cvt_pk_fp8_f32 v59, v82, v83 op_sel:[0,0,1]              // 0000000054BC: D2A2403B 0002A752
	v_cvt_pk_fp8_f32 v60, v84, v85                             // 0000000054C4: D2A2003C 0002AB54
	v_cvt_pk_fp8_f32 v60, v86, v87 op_sel:[0,0,1]              // 0000000054CC: D2A2403C 0002AF56
	v_cvt_pk_fp8_f32 v61, v88, v89                             // 0000000054D4: D2A2003D 0002B358
	v_cvt_pk_fp8_f32 v61, v90, v91 op_sel:[0,0,1]              // 0000000054DC: D2A2403D 0002B75A
	v_cvt_pk_fp8_f32 v62, v92, v93                             // 0000000054E4: D2A2003E 0002BB5C
	v_cvt_pk_fp8_f32 v62, v94, v95 op_sel:[0,0,1]              // 0000000054EC: D2A2403E 0002BF5E
	v_cvt_pk_fp8_f32 v63, v96, v97                             // 0000000054F4: D2A2003F 0002C360
	v_cvt_pk_fp8_f32 v63, v98, v99 op_sel:[0,0,1]              // 0000000054FC: D2A2403F 0002C762
	v_cvt_pk_fp8_f32 v64, v100, v101                           // 000000005504: D2A20040 0002CB64
	v_cvt_pk_fp8_f32 v64, v102, v103 op_sel:[0,0,1]            // 00000000550C: D2A24040 0002CF66
	v_cvt_pk_fp8_f32 v65, v104, v105                           // 000000005514: D2A20041 0002D368
	v_cvt_pk_fp8_f32 v65, v106, v107 op_sel:[0,0,1]            // 00000000551C: D2A24041 0002D76A
	v_cvt_pk_fp8_f32 v66, v108, v109                           // 000000005524: D2A20042 0002DB6C
	v_cvt_pk_fp8_f32 v66, v110, v111 op_sel:[0,0,1]            // 00000000552C: D2A24042 0002DF6E
	v_cvt_pk_fp8_f32 v67, v112, v113                           // 000000005534: D2A20043 0002E370
	v_cvt_pk_fp8_f32 v67, v114, v115 op_sel:[0,0,1]            // 00000000553C: D2A24043 0002E772
	s_barrier                                                  // 000000005544: BF8A0000
	s_waitcnt vmcnt(0)                                         // 000000005548: BF8C0F70
	s_waitcnt lgkmcnt(8)                                       // 00000000554C: BF8CC87F
	s_setprio 1                                                // 000000005550: BF8F0001
	s_barrier                                                  // 000000005554: BF8A0000
	v_mfma_f32_32x32x64_f8f6f4 v[116:131], v[20:27], v[52:59], v[116:131]// 000000005558: D3AE0074 05D26914
	ds_read_b64_tr_b8 v[36:37], v219 offset:16672              // 000000005560: D9C44120 240000DB
	ds_read_b64_tr_b8 v[38:39], v219 offset:16928              // 000000005568: D9C44220 260000DB
	ds_read_b64_tr_b8 v[40:41], v219 offset:17184              // 000000005570: D9C44320 280000DB
	ds_read_b64_tr_b8 v[42:43], v219 offset:17440              // 000000005578: D9C44420 2A0000DB
	s_waitcnt lgkmcnt(8)                                       // 000000005580: BF8CC87F
	v_mfma_f32_32x32x64_f8f6f4 v[116:131], v[28:35], v[60:67], v[116:131]// 000000005584: D3AE0074 05D2791C
	ds_read_b64_tr_b8 v[44:45], v219 offset:24992              // 00000000558C: D9C461A0 2C0000DB
	ds_read_b64_tr_b8 v[46:47], v219 offset:25248              // 000000005594: D9C462A0 2E0000DB
	ds_read_b64_tr_b8 v[48:49], v219 offset:25504              // 00000000559C: D9C463A0 300000DB
	ds_read_b64_tr_b8 v[50:51], v219 offset:25760              // 0000000055A4: D9C464A0 320000DB
	s_waitcnt lgkmcnt(8)                                       // 0000000055AC: BF8CC87F
	v_mfma_f32_32x32x64_f8f6f4 v[132:147], v[36:43], v[52:59], v[132:147]// 0000000055B0: D3AE0084 06126924
	ds_read_b64_tr_b8 v[20:21], v219 offset:16704              // 0000000055B8: D9C44140 140000DB
	ds_read_b64_tr_b8 v[22:23], v219 offset:16960              // 0000000055C0: D9C44240 160000DB
	ds_read_b64_tr_b8 v[24:25], v219 offset:17216              // 0000000055C8: D9C44340 180000DB
	ds_read_b64_tr_b8 v[26:27], v219 offset:17472              // 0000000055D0: D9C44440 1A0000DB
	s_waitcnt lgkmcnt(8)                                       // 0000000055D8: BF8CC87F
	v_mfma_f32_32x32x64_f8f6f4 v[132:147], v[44:51], v[60:67], v[132:147]// 0000000055DC: D3AE0084 0612792C
	ds_read_b64_tr_b8 v[28:29], v219 offset:25024              // 0000000055E4: D9C461C0 1C0000DB
	ds_read_b64_tr_b8 v[30:31], v219 offset:25280              // 0000000055EC: D9C462C0 1E0000DB
	ds_read_b64_tr_b8 v[32:33], v219 offset:25536              // 0000000055F4: D9C463C0 200000DB
	ds_read_b64_tr_b8 v[34:35], v219 offset:25792              // 0000000055FC: D9C464C0 220000DB
	s_waitcnt lgkmcnt(8)                                       // 000000005604: BF8CC87F
	v_mfma_f32_32x32x64_f8f6f4 v[148:163], v[20:27], v[52:59], v[148:163]// 000000005608: D3AE0094 06526914
	ds_read_b64_tr_b8 v[36:37], v219 offset:16736              // 000000005610: D9C44160 240000DB
	ds_read_b64_tr_b8 v[38:39], v219 offset:16992              // 000000005618: D9C44260 260000DB
	ds_read_b64_tr_b8 v[40:41], v219 offset:17248              // 000000005620: D9C44360 280000DB
	ds_read_b64_tr_b8 v[42:43], v219 offset:17504              // 000000005628: D9C44460 2A0000DB
	s_waitcnt lgkmcnt(8)                                       // 000000005630: BF8CC87F
	v_mfma_f32_32x32x64_f8f6f4 v[148:163], v[28:35], v[60:67], v[148:163]// 000000005634: D3AE0094 0652791C
	ds_read_b64_tr_b8 v[44:45], v219 offset:25056              // 00000000563C: D9C461E0 2C0000DB
	ds_read_b64_tr_b8 v[46:47], v219 offset:25312              // 000000005644: D9C462E0 2E0000DB
	ds_read_b64_tr_b8 v[48:49], v219 offset:25568              // 00000000564C: D9C463E0 300000DB
	ds_read_b64_tr_b8 v[50:51], v219 offset:25824              // 000000005654: D9C464E0 320000DB
	s_waitcnt lgkmcnt(8)                                       // 00000000565C: BF8CC87F
	v_mfma_f32_32x32x64_f8f6f4 v[164:179], v[36:43], v[52:59], v[164:179]// 000000005660: D3AE00A4 06926924
	ds_read_b128 v[20:23], v218                                // 000000005668: D9FE0000 140000DA
	ds_read_b128 v[24:27], v218 offset:32                      // 000000005670: D9FE0020 180000DA
	s_waitcnt lgkmcnt(6)                                       // 000000005678: BF8CC67F
	v_mfma_f32_32x32x64_f8f6f4 v[164:179], v[44:51], v[60:67], v[164:179]// 00000000567C: D3AE00A4 0692792C
	ds_read_b128 v[28:31], v218 offset:4160                    // 000000005684: D9FE1040 1C0000DA
	ds_read_b128 v[32:35], v218 offset:4192                    // 00000000568C: D9FE1060 200000DA
	s_addk_i32 s68, 0x80                                       // 000000005694: B7440080
	s_branch label_0820                                        // 000000005698: BF82FB61

000000000000569c <label_1A9C>:
	s_setprio 0                                                // 00000000569C: BF8F0000
	s_lshl_b32 s66, s42, 2                                     // 0000000056A0: 8E42822A
	v_add_u32_e32 v209, s66, v208                              // 0000000056A4: 69A3A042
	v_lshrrev_b32_e32 v181, 2, v209                            // 0000000056A8: 216BA282
	v_add_u32_e32 v184, 0x200, v209                            // 0000000056AC: 6971A2FF 00000200
	v_lshrrev_b32_e32 v182, 2, v184                            // 0000000056B4: 216D7082
	v_add_u32_e32 v209, 0x400, v209                            // 0000000056B8: 69A3A2FF 00000400
	v_mov_b32_e32 v203, v201                                   // 0000000056C0: 7F9603C9
	v_mov_b32_e32 v204, v202                                   // 0000000056C4: 7F9803CA
	s_add_u32 m0, s70, 0                                       // 0000000056C8: 807C8046
	buffer_load_dwordx4 v203, s[8:11], 0 offen lds             // 0000000056CC: E05D1000 800200CB
	s_add_u32 m0, s70, 0x410                                   // 0000000056D4: 807CFF46 00000410
	buffer_load_dwordx4 v204, s[8:11], 0 offen lds             // 0000000056DC: E05D1000 800200CC
	s_add_u32 m0, s70, 0x1000                                  // 0000000056E4: 807CFF46 00001000
	buffer_load_dwordx4 v203, s[8:11], 0 offen offset:64 lds   // 0000000056EC: E05D1040 800200CB
	s_add_u32 m0, s70, 0x1410                                  // 0000000056F4: 807CFF46 00001410
	buffer_load_dwordx4 v204, s[8:11], 0 offen offset:64 lds   // 0000000056FC: E05D1040 800200CC
	s_sub_i32 s66, s59, s29                                    // 000000005704: 81C21D3B
	s_add_i32 s66, s66, s50                                    // 000000005708: 81423242
	s_addk_i32 s66, 0x1                                        // 00000000570C: B7420001
	v_add_u32_e32 v194, s66, v196                              // 000000005710: 69858842
	v_cmp_lt_i32_e64 vcc, v194, s43                            // 000000005714: D0C1006A 000057C2
	v_mov_b32_e32 v184, s43                                    // 00000000571C: 7F70022B
	v_cndmask_b32_e32 v194, v184, v194, vcc                    // 000000005720: 018585B8
	s_cmp_lt_i32 s66, s43                                      // 000000005724: BF042B42
	s_cselect_b32 s66, s66, s43                                // 000000005728: 85422B42
	s_and_b32 s69, s66, 0xffffff80                             // 00000000572C: 8645FF42 FFFFFF80
	v_mov_b32_e32 v221, v220                                   // 000000005734: 7FBA03DC
	v_and_b32_e32 v184, 7, v0                                  // 000000005738: 27700087
	v_lshlrev_b32_e32 v213, 4, v184                            // 00000000573C: 25AB7084
	s_waitcnt vmcnt(0)                                         // 000000005740: BF8C0F70
	v_mul_i32_i24_dpp v184, v181, v223 quad_perm:[0,0,0,0] row_mask:0xf bank_mask:0xf// 000000005744: 0D71BEFA FF0000B5
	v_mul_i32_i24_dpp v185, v181, v223 quad_perm:[1,1,1,1] row_mask:0xf bank_mask:0xf// 00000000574C: 0D73BEFA FF0055B5
	v_mul_i32_i24_dpp v186, v181, v223 quad_perm:[2,2,2,2] row_mask:0xf bank_mask:0xf// 000000005754: 0D75BEFA FF00AAB5
	v_mul_i32_i24_dpp v187, v181, v223 quad_perm:[3,3,3,3] row_mask:0xf bank_mask:0xf// 00000000575C: 0D77BEFA FF00FFB5
	v_add_u32_e32 v214, v213, v184                             // 000000005764: 69AD71D5
	v_add_u32_e32 v215, v213, v185                             // 000000005768: 69AF73D5
	v_add_u32_e32 v216, v213, v186                             // 00000000576C: 69B175D5
	v_add_u32_e32 v217, v213, v187                             // 000000005770: 69B377D5
	s_add_u32 m0, s72, 0                                       // 000000005774: 807C8048
	buffer_load_dwordx4 v214, s[16:19], 0 offen lds            // 000000005778: E05D1000 800400D6
	s_add_u32 m0, s72, 0x410                                   // 000000005780: 807CFF48 00000410
	buffer_load_dwordx4 v215, s[16:19], 0 offen lds            // 000000005788: E05D1000 800400D7
	s_add_u32 m0, s72, 0x820                                   // 000000005790: 807CFF48 00000820
	buffer_load_dwordx4 v216, s[16:19], 0 offen lds            // 000000005798: E05D1000 800400D8
	s_add_u32 m0, s72, 0xc30                                   // 0000000057A0: 807CFF48 00000C30
	buffer_load_dwordx4 v217, s[16:19], 0 offen lds            // 0000000057A8: E05D1000 800400D9
	s_waitcnt vmcnt(4)                                         // 0000000057B0: BF8C0F74
	s_barrier                                                  // 0000000057B4: BF8A0000
	ds_read_b128 v[4:7], v205                                  // 0000000057B8: D9FE0000 040000CD
	ds_read_b128 v[8:11], v205 offset:32                       // 0000000057C0: D9FE0020 080000CD
	ds_read_b128 v[12:15], v205 offset:4160                    // 0000000057C8: D9FE1040 0C0000CD
	ds_read_b128 v[16:19], v205 offset:4192                    // 0000000057D0: D9FE1060 100000CD
	s_barrier                                                  // 0000000057D8: BF8A0000
	s_waitcnt vmcnt(0)                                         // 0000000057DC: BF8C0F70
	s_barrier                                                  // 0000000057E0: BF8A0000
	s_barrier                                                  // 0000000057E4: BF8A0000
	s_barrier                                                  // 0000000057E8: BF8A0000
	s_barrier                                                  // 0000000057EC: BF8A0000
	s_setprio 1                                                // 0000000057F0: BF8F0001
	ds_read_b128 v[20:23], v218                                // 0000000057F4: D9FE0000 140000DA
	ds_read_b128 v[24:27], v218 offset:32                      // 0000000057FC: D9FE0020 180000DA
	ds_read_b128 v[28:31], v218 offset:4160                    // 000000005804: D9FE1040 1C0000DA
	ds_read_b128 v[32:35], v218 offset:4192                    // 00000000580C: D9FE1060 200000DA

0000000000005814 <label_1C14>:
	s_cmp_lt_i32 s68, s69                                      // 000000005814: BF044544
	s_cbranch_scc0 label_4A44                                  // 000000005818: BF840B8A
	s_waitcnt lgkmcnt(2)                                       // 00000000581C: BF8CC27F
	v_mfma_f32_32x32x64_f8f6f4 v[52:67], v[20:27], v[4:11], 0  // 000000005820: D3AE0034 02020914
	v_mul_i32_i24_dpp v184, v182, v223 quad_perm:[0,0,0,0] row_mask:0xf bank_mask:0xf// 000000005828: 0D71BEFA FF0000B6
	v_mul_i32_i24_dpp v185, v182, v223 quad_perm:[1,1,1,1] row_mask:0xf bank_mask:0xf// 000000005830: 0D73BEFA FF0055B6
	v_mul_i32_i24_dpp v186, v182, v223 quad_perm:[2,2,2,2] row_mask:0xf bank_mask:0xf// 000000005838: 0D75BEFA FF00AAB6
	v_mul_i32_i24_dpp v187, v182, v223 quad_perm:[3,3,3,3] row_mask:0xf bank_mask:0xf// 000000005840: 0D77BEFA FF00FFB6
	v_add_u32_e32 v214, v213, v184                             // 000000005848: 69AD71D5
	v_add_u32_e32 v215, v213, v185                             // 00000000584C: 69AF73D5
	v_add_u32_e32 v216, v213, v186                             // 000000005850: 69B175D5
	v_add_u32_e32 v217, v213, v187                             // 000000005854: 69B377D5
	ds_read_b128 v[36:39], v218 offset:512                     // 000000005858: D9FE0200 240000DA
	ds_read_b128 v[40:43], v218 offset:544                     // 000000005860: D9FE0220 280000DA
	s_waitcnt lgkmcnt(2)                                       // 000000005868: BF8CC27F
	v_mfma_f32_32x32x64_f8f6f4 v[52:67], v[28:35], v[12:19], v[52:67]// 00000000586C: D3AE0034 04D2191C
	s_add_u32 m0, s72, 0x4100                                  // 000000005874: 807CFF48 00004100
	buffer_load_dwordx4 v214, s[16:19], 0 offen lds            // 00000000587C: E05D1000 800400D6
	ds_read_b128 v[44:47], v218 offset:4672                    // 000000005884: D9FE1240 2C0000DA
	ds_read_b128 v[48:51], v218 offset:4704                    // 00000000588C: D9FE1260 300000DA
	s_waitcnt lgkmcnt(2)                                       // 000000005894: BF8CC27F
	v_mfma_f32_32x32x64_f8f6f4 v[68:83], v[36:43], v[4:11], 0  // 000000005898: D3AE0044 02020924
	s_add_u32 m0, s72, 0x4510                                  // 0000000058A0: 807CFF48 00004510
	buffer_load_dwordx4 v215, s[16:19], 0 offen lds            // 0000000058A8: E05D1000 800400D7
	ds_read_b128 v[20:23], v218 offset:8320                    // 0000000058B0: D9FE2080 140000DA
	ds_read_b128 v[24:27], v218 offset:8352                    // 0000000058B8: D9FE20A0 180000DA
	s_waitcnt lgkmcnt(2)                                       // 0000000058C0: BF8CC27F
	v_mfma_f32_32x32x64_f8f6f4 v[68:83], v[44:51], v[12:19], v[68:83]// 0000000058C4: D3AE0044 0512192C
	s_add_u32 m0, s72, 0x4920                                  // 0000000058CC: 807CFF48 00004920
	buffer_load_dwordx4 v216, s[16:19], 0 offen lds            // 0000000058D4: E05D1000 800400D8
	ds_read_b128 v[28:31], v218 offset:12480                   // 0000000058DC: D9FE30C0 1C0000DA
	ds_read_b128 v[32:35], v218 offset:12512                   // 0000000058E4: D9FE30E0 200000DA
	s_waitcnt lgkmcnt(2)                                       // 0000000058EC: BF8CC27F
	v_mfma_f32_32x32x64_f8f6f4 v[84:99], v[20:27], v[4:11], 0  // 0000000058F0: D3AE0054 02020914
	s_add_u32 m0, s72, 0x4d30                                  // 0000000058F8: 807CFF48 00004D30
	buffer_load_dwordx4 v217, s[16:19], 0 offen lds            // 000000005900: E05D1000 800400D9
	ds_read_b128 v[36:39], v218 offset:8832                    // 000000005908: D9FE2280 240000DA
	ds_read_b128 v[40:43], v218 offset:8864                    // 000000005910: D9FE22A0 280000DA
	s_waitcnt lgkmcnt(2)                                       // 000000005918: BF8CC27F
	v_mfma_f32_32x32x64_f8f6f4 v[84:99], v[28:35], v[12:19], v[84:99]// 00000000591C: D3AE0054 0552191C
	v_lshrrev_b32_e32 v181, 2, v209                            // 000000005924: 216BA282
	ds_read_b128 v[44:47], v218 offset:12992                   // 000000005928: D9FE32C0 2C0000DA
	ds_read_b128 v[48:51], v218 offset:13024                   // 000000005930: D9FE32E0 300000DA
	s_waitcnt lgkmcnt(2)                                       // 000000005938: BF8CC27F
	v_mfma_f32_32x32x64_f8f6f4 v[100:115], v[36:43], v[4:11], 0// 00000000593C: D3AE0064 02020924
	v_add_u32_e32 v184, 0x200, v209                            // 000000005944: 6971A2FF 00000200
	v_lshrrev_b32_e32 v182, 2, v184                            // 00000000594C: 216D7082
	v_add_u32_e32 v209, 0x400, v209                            // 000000005950: 69A3A2FF 00000400
	ds_read_b64_tr_b8 v[20:21], v219                           // 000000005958: D9C40000 140000DB
	ds_read_b64_tr_b8 v[22:23], v219 offset:256                // 000000005960: D9C40100 160000DB
	ds_read_b64_tr_b8 v[24:25], v219 offset:512                // 000000005968: D9C40200 180000DB
	ds_read_b64_tr_b8 v[26:27], v219 offset:768                // 000000005970: D9C40300 1A0000DB
	s_waitcnt lgkmcnt(4)                                       // 000000005978: BF8CC47F
	v_mfma_f32_32x32x64_f8f6f4 v[100:115], v[44:51], v[12:19], v[100:115]// 00000000597C: D3AE0064 0592192C
	ds_read_b64_tr_b8 v[28:29], v219 offset:8320               // 000000005984: D9C42080 1C0000DB
	ds_read_b64_tr_b8 v[30:31], v219 offset:8576               // 00000000598C: D9C42180 1E0000DB
	ds_read_b64_tr_b8 v[32:33], v219 offset:8832               // 000000005994: D9C42280 200000DB
	ds_read_b64_tr_b8 v[34:35], v219 offset:9088               // 00000000599C: D9C42380 220000DB
	s_nop 5                                                    // 0000000059A4: BF800005
	s_barrier                                                  // 0000000059A8: BF8A0000
	s_setprio 0                                                // 0000000059AC: BF8F0000
	s_barrier                                                  // 0000000059B0: BF8A0000
	v_mov_b32_e32 v193, v192                                   // 0000000059B4: 7F8203C0
	v_max3_f32 v193, v52, v53, v193                            // 0000000059B8: D1D300C1 07066B34
	v_max3_f32 v193, v54, v55, v193                            // 0000000059C0: D1D300C1 07066F36
	v_max3_f32 v193, v56, v57, v193                            // 0000000059C8: D1D300C1 07067338
	v_max3_f32 v193, v58, v59, v193                            // 0000000059D0: D1D300C1 0706773A
	v_max3_f32 v193, v60, v61, v193                            // 0000000059D8: D1D300C1 07067B3C
	v_max3_f32 v193, v62, v63, v193                            // 0000000059E0: D1D300C1 07067F3E
	v_max3_f32 v193, v64, v65, v193                            // 0000000059E8: D1D300C1 07068340
	v_max3_f32 v193, v66, v67, v193                            // 0000000059F0: D1D300C1 07068742
	v_max3_f32 v193, v68, v69, v193                            // 0000000059F8: D1D300C1 07068B44
	v_max3_f32 v193, v70, v71, v193                            // 000000005A00: D1D300C1 07068F46
	v_max3_f32 v193, v72, v73, v193                            // 000000005A08: D1D300C1 07069348
	v_max3_f32 v193, v74, v75, v193                            // 000000005A10: D1D300C1 0706974A
	v_max3_f32 v193, v76, v77, v193                            // 000000005A18: D1D300C1 07069B4C
	v_max3_f32 v193, v78, v79, v193                            // 000000005A20: D1D300C1 07069F4E
	v_max3_f32 v193, v80, v81, v193                            // 000000005A28: D1D300C1 0706A350
	v_max3_f32 v193, v82, v83, v193                            // 000000005A30: D1D300C1 0706A752
	v_max3_f32 v193, v84, v85, v193                            // 000000005A38: D1D300C1 0706AB54
	v_max3_f32 v193, v86, v87, v193                            // 000000005A40: D1D300C1 0706AF56
	v_max3_f32 v193, v88, v89, v193                            // 000000005A48: D1D300C1 0706B358
	v_max3_f32 v193, v90, v91, v193                            // 000000005A50: D1D300C1 0706B75A
	v_max3_f32 v193, v92, v93, v193                            // 000000005A58: D1D300C1 0706BB5C
	v_max3_f32 v193, v94, v95, v193                            // 000000005A60: D1D300C1 0706BF5E
	v_max3_f32 v193, v96, v97, v193                            // 000000005A68: D1D300C1 0706C360
	v_max3_f32 v193, v98, v99, v193                            // 000000005A70: D1D300C1 0706C762
	v_max3_f32 v193, v100, v101, v193                          // 000000005A78: D1D300C1 0706CB64
	v_max3_f32 v193, v102, v103, v193                          // 000000005A80: D1D300C1 0706CF66
	v_max3_f32 v193, v104, v105, v193                          // 000000005A88: D1D300C1 0706D368
	v_max3_f32 v193, v106, v107, v193                          // 000000005A90: D1D300C1 0706D76A
	v_max3_f32 v193, v108, v109, v193                          // 000000005A98: D1D300C1 0706DB6C
	v_max3_f32 v193, v110, v111, v193                          // 000000005AA0: D1D300C1 0706DF6E
	v_max3_f32 v193, v112, v113, v193                          // 000000005AA8: D1D300C1 0706E370
	v_max3_f32 v193, v114, v115, v193                          // 000000005AB0: D1D300C1 0706E772
	v_mov_b32_e32 v184, v193                                   // 000000005AB8: 7F7003C1
	s_nop 1                                                    // 000000005ABC: BF800001
	s_nop 0                                                    // 000000005AC0: BF800000
	v_permlane32_swap_b32_e32 v184, v193                       // 000000005AC4: 7F70B5C1
	v_max_f32_e32 v193, v193, v184                             // 000000005AC8: 178371C1
	v_cmp_eq_u32_e64 s[66:67], v197, v193                      // 000000005ACC: D0CA0042 000383C5
	s_nop 0                                                    // 000000005AD4: BF800000
	v_cndmask_b32_e64 v193, v193, 0, s[66:67]                  // 000000005AD8: D10000C1 010901C1
	v_mul_f32_e64 v184, -s26, v193                             // 000000005AE0: D10500B8 2003821A
	v_mov_b32_e32 v185, v184                                   // 000000005AE8: 7F7203B8
	v_pk_fma_f32 v[52:53], v[52:53], s[26:27], v[184:185]      // 000000005AEC: D3B04034 1EE03534
	v_pk_fma_f32 v[54:55], v[54:55], s[26:27], v[184:185]      // 000000005AF4: D3B04036 1EE03536
	v_pk_fma_f32 v[56:57], v[56:57], s[26:27], v[184:185]      // 000000005AFC: D3B04038 1EE03538
	v_pk_fma_f32 v[58:59], v[58:59], s[26:27], v[184:185]      // 000000005B04: D3B0403A 1EE0353A
	v_pk_fma_f32 v[60:61], v[60:61], s[26:27], v[184:185]      // 000000005B0C: D3B0403C 1EE0353C
	v_pk_fma_f32 v[62:63], v[62:63], s[26:27], v[184:185]      // 000000005B14: D3B0403E 1EE0353E
	v_pk_fma_f32 v[64:65], v[64:65], s[26:27], v[184:185]      // 000000005B1C: D3B04040 1EE03540
	v_pk_fma_f32 v[66:67], v[66:67], s[26:27], v[184:185]      // 000000005B24: D3B04042 1EE03542
	v_pk_fma_f32 v[68:69], v[68:69], s[26:27], v[184:185]      // 000000005B2C: D3B04044 1EE03544
	v_pk_fma_f32 v[70:71], v[70:71], s[26:27], v[184:185]      // 000000005B34: D3B04046 1EE03546
	v_pk_fma_f32 v[72:73], v[72:73], s[26:27], v[184:185]      // 000000005B3C: D3B04048 1EE03548
	v_pk_fma_f32 v[74:75], v[74:75], s[26:27], v[184:185]      // 000000005B44: D3B0404A 1EE0354A
	v_pk_fma_f32 v[76:77], v[76:77], s[26:27], v[184:185]      // 000000005B4C: D3B0404C 1EE0354C
	v_pk_fma_f32 v[78:79], v[78:79], s[26:27], v[184:185]      // 000000005B54: D3B0404E 1EE0354E
	v_pk_fma_f32 v[80:81], v[80:81], s[26:27], v[184:185]      // 000000005B5C: D3B04050 1EE03550
	v_pk_fma_f32 v[82:83], v[82:83], s[26:27], v[184:185]      // 000000005B64: D3B04052 1EE03552
	v_pk_fma_f32 v[84:85], v[84:85], s[26:27], v[184:185]      // 000000005B6C: D3B04054 1EE03554
	v_pk_fma_f32 v[86:87], v[86:87], s[26:27], v[184:185]      // 000000005B74: D3B04056 1EE03556
	v_pk_fma_f32 v[88:89], v[88:89], s[26:27], v[184:185]      // 000000005B7C: D3B04058 1EE03558
	v_pk_fma_f32 v[90:91], v[90:91], s[26:27], v[184:185]      // 000000005B84: D3B0405A 1EE0355A
	v_pk_fma_f32 v[92:93], v[92:93], s[26:27], v[184:185]      // 000000005B8C: D3B0405C 1EE0355C
	v_pk_fma_f32 v[94:95], v[94:95], s[26:27], v[184:185]      // 000000005B94: D3B0405E 1EE0355E
	v_pk_fma_f32 v[96:97], v[96:97], s[26:27], v[184:185]      // 000000005B9C: D3B04060 1EE03560
	v_pk_fma_f32 v[98:99], v[98:99], s[26:27], v[184:185]      // 000000005BA4: D3B04062 1EE03562
	v_pk_fma_f32 v[100:101], v[100:101], s[26:27], v[184:185]  // 000000005BAC: D3B04064 1EE03564
	v_pk_fma_f32 v[102:103], v[102:103], s[26:27], v[184:185]  // 000000005BB4: D3B04066 1EE03566
	v_pk_fma_f32 v[104:105], v[104:105], s[26:27], v[184:185]  // 000000005BBC: D3B04068 1EE03568
	v_pk_fma_f32 v[106:107], v[106:107], s[26:27], v[184:185]  // 000000005BC4: D3B0406A 1EE0356A
	v_pk_fma_f32 v[108:109], v[108:109], s[26:27], v[184:185]  // 000000005BCC: D3B0406C 1EE0356C
	v_pk_fma_f32 v[110:111], v[110:111], s[26:27], v[184:185]  // 000000005BD4: D3B0406E 1EE0356E
	v_pk_fma_f32 v[112:113], v[112:113], s[26:27], v[184:185]  // 000000005BDC: D3B04070 1EE03570
	v_pk_fma_f32 v[114:115], v[114:115], s[26:27], v[184:185]  // 000000005BE4: D3B04072 1EE03572
	s_barrier                                                  // 000000005BEC: BF8A0000
	v_exp_f32_e32 v52, v52                                     // 000000005BF0: 7E684134
	v_exp_f32_e32 v53, v53                                     // 000000005BF4: 7E6A4135
	v_exp_f32_e32 v54, v54                                     // 000000005BF8: 7E6C4136
	v_exp_f32_e32 v55, v55                                     // 000000005BFC: 7E6E4137
	v_exp_f32_e32 v56, v56                                     // 000000005C00: 7E704138
	v_exp_f32_e32 v57, v57                                     // 000000005C04: 7E724139
	v_exp_f32_e32 v58, v58                                     // 000000005C08: 7E74413A
	v_exp_f32_e32 v59, v59                                     // 000000005C0C: 7E76413B
	v_exp_f32_e32 v60, v60                                     // 000000005C10: 7E78413C
	v_exp_f32_e32 v61, v61                                     // 000000005C14: 7E7A413D
	v_exp_f32_e32 v62, v62                                     // 000000005C18: 7E7C413E
	v_exp_f32_e32 v63, v63                                     // 000000005C1C: 7E7E413F
	v_exp_f32_e32 v64, v64                                     // 000000005C20: 7E804140
	v_exp_f32_e32 v65, v65                                     // 000000005C24: 7E824141
	v_exp_f32_e32 v66, v66                                     // 000000005C28: 7E844142
	v_exp_f32_e32 v67, v67                                     // 000000005C2C: 7E864143
	v_exp_f32_e32 v68, v68                                     // 000000005C30: 7E884144
	v_exp_f32_e32 v69, v69                                     // 000000005C34: 7E8A4145
	v_exp_f32_e32 v70, v70                                     // 000000005C38: 7E8C4146
	v_exp_f32_e32 v71, v71                                     // 000000005C3C: 7E8E4147
	v_exp_f32_e32 v72, v72                                     // 000000005C40: 7E904148
	v_exp_f32_e32 v73, v73                                     // 000000005C44: 7E924149
	v_exp_f32_e32 v74, v74                                     // 000000005C48: 7E94414A
	v_exp_f32_e32 v75, v75                                     // 000000005C4C: 7E96414B
	v_exp_f32_e32 v76, v76                                     // 000000005C50: 7E98414C
	v_exp_f32_e32 v77, v77                                     // 000000005C54: 7E9A414D
	v_exp_f32_e32 v78, v78                                     // 000000005C58: 7E9C414E
	v_exp_f32_e32 v79, v79                                     // 000000005C5C: 7E9E414F
	v_exp_f32_e32 v80, v80                                     // 000000005C60: 7EA04150
	v_exp_f32_e32 v81, v81                                     // 000000005C64: 7EA24151
	v_exp_f32_e32 v82, v82                                     // 000000005C68: 7EA44152
	v_exp_f32_e32 v83, v83                                     // 000000005C6C: 7EA64153
	v_exp_f32_e32 v84, v84                                     // 000000005C70: 7EA84154
	v_exp_f32_e32 v85, v85                                     // 000000005C74: 7EAA4155
	v_exp_f32_e32 v86, v86                                     // 000000005C78: 7EAC4156
	v_exp_f32_e32 v87, v87                                     // 000000005C7C: 7EAE4157
	v_exp_f32_e32 v88, v88                                     // 000000005C80: 7EB04158
	v_exp_f32_e32 v89, v89                                     // 000000005C84: 7EB24159
	v_exp_f32_e32 v90, v90                                     // 000000005C88: 7EB4415A
	v_exp_f32_e32 v91, v91                                     // 000000005C8C: 7EB6415B
	v_exp_f32_e32 v92, v92                                     // 000000005C90: 7EB8415C
	v_exp_f32_e32 v93, v93                                     // 000000005C94: 7EBA415D
	v_exp_f32_e32 v94, v94                                     // 000000005C98: 7EBC415E
	v_exp_f32_e32 v95, v95                                     // 000000005C9C: 7EBE415F
	v_exp_f32_e32 v96, v96                                     // 000000005CA0: 7EC04160
	v_exp_f32_e32 v97, v97                                     // 000000005CA4: 7EC24161
	v_exp_f32_e32 v98, v98                                     // 000000005CA8: 7EC44162
	v_exp_f32_e32 v99, v99                                     // 000000005CAC: 7EC64163
	v_exp_f32_e32 v100, v100                                   // 000000005CB0: 7EC84164
	v_exp_f32_e32 v101, v101                                   // 000000005CB4: 7ECA4165
	v_exp_f32_e32 v102, v102                                   // 000000005CB8: 7ECC4166
	v_exp_f32_e32 v103, v103                                   // 000000005CBC: 7ECE4167
	v_exp_f32_e32 v104, v104                                   // 000000005CC0: 7ED04168
	v_exp_f32_e32 v105, v105                                   // 000000005CC4: 7ED24169
	v_exp_f32_e32 v106, v106                                   // 000000005CC8: 7ED4416A
	v_exp_f32_e32 v107, v107                                   // 000000005CCC: 7ED6416B
	v_exp_f32_e32 v108, v108                                   // 000000005CD0: 7ED8416C
	v_exp_f32_e32 v109, v109                                   // 000000005CD4: 7EDA416D
	v_exp_f32_e32 v110, v110                                   // 000000005CD8: 7EDC416E
	v_exp_f32_e32 v111, v111                                   // 000000005CDC: 7EDE416F
	v_exp_f32_e32 v112, v112                                   // 000000005CE0: 7EE04170
	v_exp_f32_e32 v113, v113                                   // 000000005CE4: 7EE24171
	v_exp_f32_e32 v114, v114                                   // 000000005CE8: 7EE44172
	v_exp_f32_e32 v115, v115                                   // 000000005CEC: 7EE64173
	v_sub_f32_e32 v188, v192, v193                             // 000000005CF0: 057983C0
	v_cmp_eq_u32_e64 s[66:67], v197, v192                      // 000000005CF4: D0CA0042 000381C5
	s_nop 0                                                    // 000000005CFC: BF800000
	v_cndmask_b32_e64 v188, v188, 0, s[66:67]                  // 000000005D00: D10000BC 010901BC
	v_mov_b32_e32 v192, v193                                   // 000000005D08: 7F8003C1
	v_mul_f32_e32 v188, s26, v188                              // 000000005D0C: 0B79781A
	v_exp_f32_e32 v188, v188                                   // 000000005D10: 7F7841BC
	s_nop 0                                                    // 000000005D14: BF800000
	v_mul_f32_e32 v190, v188, v190                             // 000000005D18: 0B7D7DBC
	v_add_f32_e32 v190, v52, v190                              // 000000005D1C: 037D7D34
	v_add_f32_e32 v190, v53, v190                              // 000000005D20: 037D7D35
	v_add_f32_e32 v190, v54, v190                              // 000000005D24: 037D7D36
	v_add_f32_e32 v190, v55, v190                              // 000000005D28: 037D7D37
	v_add_f32_e32 v190, v56, v190                              // 000000005D2C: 037D7D38
	v_add_f32_e32 v190, v57, v190                              // 000000005D30: 037D7D39
	v_add_f32_e32 v190, v58, v190                              // 000000005D34: 037D7D3A
	v_add_f32_e32 v190, v59, v190                              // 000000005D38: 037D7D3B
	v_add_f32_e32 v190, v60, v190                              // 000000005D3C: 037D7D3C
	v_add_f32_e32 v190, v61, v190                              // 000000005D40: 037D7D3D
	v_add_f32_e32 v190, v62, v190                              // 000000005D44: 037D7D3E
	v_add_f32_e32 v190, v63, v190                              // 000000005D48: 037D7D3F
	v_add_f32_e32 v190, v64, v190                              // 000000005D4C: 037D7D40
	v_add_f32_e32 v190, v65, v190                              // 000000005D50: 037D7D41
	v_add_f32_e32 v190, v66, v190                              // 000000005D54: 037D7D42
	v_add_f32_e32 v190, v67, v190                              // 000000005D58: 037D7D43
	v_add_f32_e32 v190, v68, v190                              // 000000005D5C: 037D7D44
	v_add_f32_e32 v190, v69, v190                              // 000000005D60: 037D7D45
	v_add_f32_e32 v190, v70, v190                              // 000000005D64: 037D7D46
	v_add_f32_e32 v190, v71, v190                              // 000000005D68: 037D7D47
	v_add_f32_e32 v190, v72, v190                              // 000000005D6C: 037D7D48
	v_add_f32_e32 v190, v73, v190                              // 000000005D70: 037D7D49
	v_add_f32_e32 v190, v74, v190                              // 000000005D74: 037D7D4A
	v_add_f32_e32 v190, v75, v190                              // 000000005D78: 037D7D4B
	v_add_f32_e32 v190, v76, v190                              // 000000005D7C: 037D7D4C
	v_add_f32_e32 v190, v77, v190                              // 000000005D80: 037D7D4D
	v_add_f32_e32 v190, v78, v190                              // 000000005D84: 037D7D4E
	v_add_f32_e32 v190, v79, v190                              // 000000005D88: 037D7D4F
	v_add_f32_e32 v190, v80, v190                              // 000000005D8C: 037D7D50
	v_add_f32_e32 v190, v81, v190                              // 000000005D90: 037D7D51
	v_add_f32_e32 v190, v82, v190                              // 000000005D94: 037D7D52
	v_add_f32_e32 v190, v83, v190                              // 000000005D98: 037D7D53
	v_add_f32_e32 v190, v84, v190                              // 000000005D9C: 037D7D54
	v_add_f32_e32 v190, v85, v190                              // 000000005DA0: 037D7D55
	v_add_f32_e32 v190, v86, v190                              // 000000005DA4: 037D7D56
	v_add_f32_e32 v190, v87, v190                              // 000000005DA8: 037D7D57
	v_add_f32_e32 v190, v88, v190                              // 000000005DAC: 037D7D58
	v_add_f32_e32 v190, v89, v190                              // 000000005DB0: 037D7D59
	v_add_f32_e32 v190, v90, v190                              // 000000005DB4: 037D7D5A
	v_add_f32_e32 v190, v91, v190                              // 000000005DB8: 037D7D5B
	v_add_f32_e32 v190, v92, v190                              // 000000005DBC: 037D7D5C
	v_add_f32_e32 v190, v93, v190                              // 000000005DC0: 037D7D5D
	v_add_f32_e32 v190, v94, v190                              // 000000005DC4: 037D7D5E
	v_add_f32_e32 v190, v95, v190                              // 000000005DC8: 037D7D5F
	v_add_f32_e32 v190, v96, v190                              // 000000005DCC: 037D7D60
	v_add_f32_e32 v190, v97, v190                              // 000000005DD0: 037D7D61
	v_add_f32_e32 v190, v98, v190                              // 000000005DD4: 037D7D62
	v_add_f32_e32 v190, v99, v190                              // 000000005DD8: 037D7D63
	v_add_f32_e32 v190, v100, v190                             // 000000005DDC: 037D7D64
	v_add_f32_e32 v190, v101, v190                             // 000000005DE0: 037D7D65
	v_add_f32_e32 v190, v102, v190                             // 000000005DE4: 037D7D66
	v_add_f32_e32 v190, v103, v190                             // 000000005DE8: 037D7D67
	v_add_f32_e32 v190, v104, v190                             // 000000005DEC: 037D7D68
	v_add_f32_e32 v190, v105, v190                             // 000000005DF0: 037D7D69
	v_add_f32_e32 v190, v106, v190                             // 000000005DF4: 037D7D6A
	v_add_f32_e32 v190, v107, v190                             // 000000005DF8: 037D7D6B
	v_add_f32_e32 v190, v108, v190                             // 000000005DFC: 037D7D6C
	v_add_f32_e32 v190, v109, v190                             // 000000005E00: 037D7D6D
	v_add_f32_e32 v190, v110, v190                             // 000000005E04: 037D7D6E
	v_add_f32_e32 v190, v111, v190                             // 000000005E08: 037D7D6F
	v_add_f32_e32 v190, v112, v190                             // 000000005E0C: 037D7D70
	v_add_f32_e32 v190, v113, v190                             // 000000005E10: 037D7D71
	v_add_f32_e32 v190, v114, v190                             // 000000005E14: 037D7D72
	v_add_f32_e32 v190, v115, v190                             // 000000005E18: 037D7D73
	v_mul_f32_e32 v116, v188, v116                             // 000000005E1C: 0AE8E9BC
	v_mul_f32_e32 v117, v188, v117                             // 000000005E20: 0AEAEBBC
	v_mul_f32_e32 v118, v188, v118                             // 000000005E24: 0AECEDBC
	v_mul_f32_e32 v119, v188, v119                             // 000000005E28: 0AEEEFBC
	v_mul_f32_e32 v120, v188, v120                             // 000000005E2C: 0AF0F1BC
	v_mul_f32_e32 v121, v188, v121                             // 000000005E30: 0AF2F3BC
	v_mul_f32_e32 v122, v188, v122                             // 000000005E34: 0AF4F5BC
	v_mul_f32_e32 v123, v188, v123                             // 000000005E38: 0AF6F7BC
	v_mul_f32_e32 v124, v188, v124                             // 000000005E3C: 0AF8F9BC
	v_mul_f32_e32 v125, v188, v125                             // 000000005E40: 0AFAFBBC
	v_mul_f32_e32 v126, v188, v126                             // 000000005E44: 0AFCFDBC
	v_mul_f32_e32 v127, v188, v127                             // 000000005E48: 0AFEFFBC
	v_mul_f32_e32 v128, v188, v128                             // 000000005E4C: 0B0101BC
	v_mul_f32_e32 v129, v188, v129                             // 000000005E50: 0B0303BC
	v_mul_f32_e32 v130, v188, v130                             // 000000005E54: 0B0505BC
	v_mul_f32_e32 v131, v188, v131                             // 000000005E58: 0B0707BC
	v_mul_f32_e32 v132, v188, v132                             // 000000005E5C: 0B0909BC
	v_mul_f32_e32 v133, v188, v133                             // 000000005E60: 0B0B0BBC
	v_mul_f32_e32 v134, v188, v134                             // 000000005E64: 0B0D0DBC
	v_mul_f32_e32 v135, v188, v135                             // 000000005E68: 0B0F0FBC
	v_mul_f32_e32 v136, v188, v136                             // 000000005E6C: 0B1111BC
	v_mul_f32_e32 v137, v188, v137                             // 000000005E70: 0B1313BC
	v_mul_f32_e32 v138, v188, v138                             // 000000005E74: 0B1515BC
	v_mul_f32_e32 v139, v188, v139                             // 000000005E78: 0B1717BC
	v_mul_f32_e32 v140, v188, v140                             // 000000005E7C: 0B1919BC
	s_waitcnt vmcnt(0)                                         // 000000005E80: BF8C0F70
	s_barrier                                                  // 000000005E84: BF8A0000
	v_mul_f32_e32 v141, v188, v141                             // 000000005E88: 0B1B1BBC
	v_mul_f32_e32 v142, v188, v142                             // 000000005E8C: 0B1D1DBC
	v_mul_f32_e32 v143, v188, v143                             // 000000005E90: 0B1F1FBC
	v_mul_f32_e32 v144, v188, v144                             // 000000005E94: 0B2121BC
	v_mul_f32_e32 v145, v188, v145                             // 000000005E98: 0B2323BC
	v_mul_f32_e32 v146, v188, v146                             // 000000005E9C: 0B2525BC
	v_mul_f32_e32 v147, v188, v147                             // 000000005EA0: 0B2727BC
	v_mul_f32_e32 v148, v188, v148                             // 000000005EA4: 0B2929BC
	v_mul_f32_e32 v149, v188, v149                             // 000000005EA8: 0B2B2BBC
	v_mul_f32_e32 v150, v188, v150                             // 000000005EAC: 0B2D2DBC
	v_mul_f32_e32 v151, v188, v151                             // 000000005EB0: 0B2F2FBC
	v_mul_f32_e32 v152, v188, v152                             // 000000005EB4: 0B3131BC
	v_mul_f32_e32 v153, v188, v153                             // 000000005EB8: 0B3333BC
	v_mul_f32_e32 v154, v188, v154                             // 000000005EBC: 0B3535BC
	v_mul_f32_e32 v155, v188, v155                             // 000000005EC0: 0B3737BC
	v_mul_f32_e32 v156, v188, v156                             // 000000005EC4: 0B3939BC
	v_mul_f32_e32 v157, v188, v157                             // 000000005EC8: 0B3B3BBC
	v_mul_f32_e32 v158, v188, v158                             // 000000005ECC: 0B3D3DBC
	v_mul_f32_e32 v159, v188, v159                             // 000000005ED0: 0B3F3FBC
	v_mul_f32_e32 v160, v188, v160                             // 000000005ED4: 0B4141BC
	v_mul_f32_e32 v161, v188, v161                             // 000000005ED8: 0B4343BC
	v_mul_f32_e32 v162, v188, v162                             // 000000005EDC: 0B4545BC
	v_mul_f32_e32 v163, v188, v163                             // 000000005EE0: 0B4747BC
	v_mul_f32_e32 v164, v188, v164                             // 000000005EE4: 0B4949BC
	v_mul_f32_e32 v165, v188, v165                             // 000000005EE8: 0B4B4BBC
	v_mul_f32_e32 v166, v188, v166                             // 000000005EEC: 0B4D4DBC
	v_mul_f32_e32 v167, v188, v167                             // 000000005EF0: 0B4F4FBC
	v_mul_f32_e32 v168, v188, v168                             // 000000005EF4: 0B5151BC
	v_mul_f32_e32 v169, v188, v169                             // 000000005EF8: 0B5353BC
	v_mul_f32_e32 v170, v188, v170                             // 000000005EFC: 0B5555BC
	v_mul_f32_e32 v171, v188, v171                             // 000000005F00: 0B5757BC
	v_mul_f32_e32 v172, v188, v172                             // 000000005F04: 0B5959BC
	v_mul_f32_e32 v173, v188, v173                             // 000000005F08: 0B5B5BBC
	v_mul_f32_e32 v174, v188, v174                             // 000000005F0C: 0B5D5DBC
	v_mul_f32_e32 v175, v188, v175                             // 000000005F10: 0B5F5FBC
	v_mul_f32_e32 v176, v188, v176                             // 000000005F14: 0B6161BC
	v_mul_f32_e32 v177, v188, v177                             // 000000005F18: 0B6363BC
	v_mul_f32_e32 v178, v188, v178                             // 000000005F1C: 0B6565BC
	v_mul_f32_e32 v179, v188, v179                             // 000000005F20: 0B6767BC
	s_barrier                                                  // 000000005F24: BF8A0000
	v_cvt_pk_fp8_f32 v52, v52, v53                             // 000000005F28: D2A20034 00026B34
	v_cvt_pk_fp8_f32 v52, v54, v55 op_sel:[0,0,1]              // 000000005F30: D2A24034 00026F36
	v_cvt_pk_fp8_f32 v53, v56, v57                             // 000000005F38: D2A20035 00027338
	v_cvt_pk_fp8_f32 v53, v58, v59 op_sel:[0,0,1]              // 000000005F40: D2A24035 0002773A
	v_cvt_pk_fp8_f32 v54, v60, v61                             // 000000005F48: D2A20036 00027B3C
	v_cvt_pk_fp8_f32 v54, v62, v63 op_sel:[0,0,1]              // 000000005F50: D2A24036 00027F3E
	v_cvt_pk_fp8_f32 v55, v64, v65                             // 000000005F58: D2A20037 00028340
	v_cvt_pk_fp8_f32 v55, v66, v67 op_sel:[0,0,1]              // 000000005F60: D2A24037 00028742
	v_cvt_pk_fp8_f32 v56, v68, v69                             // 000000005F68: D2A20038 00028B44
	v_cvt_pk_fp8_f32 v56, v70, v71 op_sel:[0,0,1]              // 000000005F70: D2A24038 00028F46
	v_cvt_pk_fp8_f32 v57, v72, v73                             // 000000005F78: D2A20039 00029348
	v_cvt_pk_fp8_f32 v57, v74, v75 op_sel:[0,0,1]              // 000000005F80: D2A24039 0002974A
	v_cvt_pk_fp8_f32 v58, v76, v77                             // 000000005F88: D2A2003A 00029B4C
	v_cvt_pk_fp8_f32 v58, v78, v79 op_sel:[0,0,1]              // 000000005F90: D2A2403A 00029F4E
	v_cvt_pk_fp8_f32 v59, v80, v81                             // 000000005F98: D2A2003B 0002A350
	v_cvt_pk_fp8_f32 v59, v82, v83 op_sel:[0,0,1]              // 000000005FA0: D2A2403B 0002A752
	v_cvt_pk_fp8_f32 v60, v84, v85                             // 000000005FA8: D2A2003C 0002AB54
	v_cvt_pk_fp8_f32 v60, v86, v87 op_sel:[0,0,1]              // 000000005FB0: D2A2403C 0002AF56
	v_cvt_pk_fp8_f32 v61, v88, v89                             // 000000005FB8: D2A2003D 0002B358
	v_cvt_pk_fp8_f32 v61, v90, v91 op_sel:[0,0,1]              // 000000005FC0: D2A2403D 0002B75A
	v_cvt_pk_fp8_f32 v62, v92, v93                             // 000000005FC8: D2A2003E 0002BB5C
	v_cvt_pk_fp8_f32 v62, v94, v95 op_sel:[0,0,1]              // 000000005FD0: D2A2403E 0002BF5E
	v_cvt_pk_fp8_f32 v63, v96, v97                             // 000000005FD8: D2A2003F 0002C360
	v_cvt_pk_fp8_f32 v63, v98, v99 op_sel:[0,0,1]              // 000000005FE0: D2A2403F 0002C762
	v_cvt_pk_fp8_f32 v64, v100, v101                           // 000000005FE8: D2A20040 0002CB64
	v_cvt_pk_fp8_f32 v64, v102, v103 op_sel:[0,0,1]            // 000000005FF0: D2A24040 0002CF66
	v_cvt_pk_fp8_f32 v65, v104, v105                           // 000000005FF8: D2A20041 0002D368
	v_cvt_pk_fp8_f32 v65, v106, v107 op_sel:[0,0,1]            // 000000006000: D2A24041 0002D76A
	v_cvt_pk_fp8_f32 v66, v108, v109                           // 000000006008: D2A20042 0002DB6C
	v_cvt_pk_fp8_f32 v66, v110, v111 op_sel:[0,0,1]            // 000000006010: D2A24042 0002DF6E
	v_cvt_pk_fp8_f32 v67, v112, v113                           // 000000006018: D2A20043 0002E370
	v_cvt_pk_fp8_f32 v67, v114, v115 op_sel:[0,0,1]            // 000000006020: D2A24043 0002E772
	s_barrier                                                  // 000000006028: BF8A0000
	s_waitcnt lgkmcnt(8)                                       // 00000000602C: BF8CC87F
	s_setprio 1                                                // 000000006030: BF8F0001
	s_barrier                                                  // 000000006034: BF8A0000
	v_mfma_f32_32x32x64_f8f6f4 v[116:131], v[20:27], v[52:59], v[116:131]// 000000006038: D3AE0074 05D26914
	ds_read_b64_tr_b8 v[36:37], v219 offset:32                 // 000000006040: D9C40020 240000DB
	ds_read_b64_tr_b8 v[38:39], v219 offset:288                // 000000006048: D9C40120 260000DB
	ds_read_b64_tr_b8 v[40:41], v219 offset:544                // 000000006050: D9C40220 280000DB
	ds_read_b64_tr_b8 v[42:43], v219 offset:800                // 000000006058: D9C40320 2A0000DB
	s_waitcnt lgkmcnt(8)                                       // 000000006060: BF8CC87F
	v_mfma_f32_32x32x64_f8f6f4 v[116:131], v[28:35], v[60:67], v[116:131]// 000000006064: D3AE0074 05D2791C
	ds_read_b64_tr_b8 v[44:45], v219 offset:8352               // 00000000606C: D9C420A0 2C0000DB
	ds_read_b64_tr_b8 v[46:47], v219 offset:8608               // 000000006074: D9C421A0 2E0000DB
	ds_read_b64_tr_b8 v[48:49], v219 offset:8864               // 00000000607C: D9C422A0 300000DB
	ds_read_b64_tr_b8 v[50:51], v219 offset:9120               // 000000006084: D9C423A0 320000DB
	s_waitcnt lgkmcnt(8)                                       // 00000000608C: BF8CC87F
	v_mfma_f32_32x32x64_f8f6f4 v[132:147], v[36:43], v[52:59], v[132:147]// 000000006090: D3AE0084 06126924
	ds_read_b64_tr_b8 v[20:21], v219 offset:64                 // 000000006098: D9C40040 140000DB
	ds_read_b64_tr_b8 v[22:23], v219 offset:320                // 0000000060A0: D9C40140 160000DB
	ds_read_b64_tr_b8 v[24:25], v219 offset:576                // 0000000060A8: D9C40240 180000DB
	ds_read_b64_tr_b8 v[26:27], v219 offset:832                // 0000000060B0: D9C40340 1A0000DB
	s_waitcnt lgkmcnt(8)                                       // 0000000060B8: BF8CC87F
	v_mfma_f32_32x32x64_f8f6f4 v[132:147], v[44:51], v[60:67], v[132:147]// 0000000060BC: D3AE0084 0612792C
	ds_read_b64_tr_b8 v[28:29], v219 offset:8384               // 0000000060C4: D9C420C0 1C0000DB
	ds_read_b64_tr_b8 v[30:31], v219 offset:8640               // 0000000060CC: D9C421C0 1E0000DB
	ds_read_b64_tr_b8 v[32:33], v219 offset:8896               // 0000000060D4: D9C422C0 200000DB
	ds_read_b64_tr_b8 v[34:35], v219 offset:9152               // 0000000060DC: D9C423C0 220000DB
	s_waitcnt lgkmcnt(8)                                       // 0000000060E4: BF8CC87F
	v_mfma_f32_32x32x64_f8f6f4 v[148:163], v[20:27], v[52:59], v[148:163]// 0000000060E8: D3AE0094 06526914
	ds_read_b64_tr_b8 v[36:37], v219 offset:96                 // 0000000060F0: D9C40060 240000DB
	ds_read_b64_tr_b8 v[38:39], v219 offset:352                // 0000000060F8: D9C40160 260000DB
	ds_read_b64_tr_b8 v[40:41], v219 offset:608                // 000000006100: D9C40260 280000DB
	ds_read_b64_tr_b8 v[42:43], v219 offset:864                // 000000006108: D9C40360 2A0000DB
	s_waitcnt lgkmcnt(8)                                       // 000000006110: BF8CC87F
	v_mfma_f32_32x32x64_f8f6f4 v[148:163], v[28:35], v[60:67], v[148:163]// 000000006114: D3AE0094 0652791C
	ds_read_b64_tr_b8 v[44:45], v219 offset:8416               // 00000000611C: D9C420E0 2C0000DB
	ds_read_b64_tr_b8 v[46:47], v219 offset:8672               // 000000006124: D9C421E0 2E0000DB
	ds_read_b64_tr_b8 v[48:49], v219 offset:8928               // 00000000612C: D9C422E0 300000DB
	ds_read_b64_tr_b8 v[50:51], v219 offset:9184               // 000000006134: D9C423E0 320000DB
	s_waitcnt lgkmcnt(8)                                       // 00000000613C: BF8CC87F
	v_mfma_f32_32x32x64_f8f6f4 v[164:179], v[36:43], v[52:59], v[164:179]// 000000006140: D3AE00A4 06926924
	ds_read_b128 v[20:23], v218 offset:16640                   // 000000006148: D9FE4100 140000DA
	ds_read_b128 v[24:27], v218 offset:16672                   // 000000006150: D9FE4120 180000DA
	s_waitcnt lgkmcnt(6)                                       // 000000006158: BF8CC67F
	v_mfma_f32_32x32x64_f8f6f4 v[164:179], v[44:51], v[60:67], v[164:179]// 00000000615C: D3AE00A4 0692792C
	ds_read_b128 v[28:31], v218 offset:20800                   // 000000006164: D9FE5140 1C0000DA
	ds_read_b128 v[32:35], v218 offset:20832                   // 00000000616C: D9FE5160 200000DA
	s_addk_i32 s68, 0x80                                       // 000000006174: B7440080
	s_cmp_lt_i32 s68, s69                                      // 000000006178: BF044544
	s_cbranch_scc0 label_5828                                  // 00000000617C: BF840CAA
	s_waitcnt lgkmcnt(2)                                       // 000000006180: BF8CC27F
	v_mfma_f32_32x32x64_f8f6f4 v[52:67], v[20:27], v[4:11], 0  // 000000006184: D3AE0034 02020914
	v_mul_i32_i24_dpp v184, v181, v223 quad_perm:[0,0,0,0] row_mask:0xf bank_mask:0xf// 00000000618C: 0D71BEFA FF0000B5
	v_mul_i32_i24_dpp v185, v181, v223 quad_perm:[1,1,1,1] row_mask:0xf bank_mask:0xf// 000000006194: 0D73BEFA FF0055B5
	v_mul_i32_i24_dpp v186, v181, v223 quad_perm:[2,2,2,2] row_mask:0xf bank_mask:0xf// 00000000619C: 0D75BEFA FF00AAB5
	v_mul_i32_i24_dpp v187, v181, v223 quad_perm:[3,3,3,3] row_mask:0xf bank_mask:0xf// 0000000061A4: 0D77BEFA FF00FFB5
	v_add_u32_e32 v214, v213, v184                             // 0000000061AC: 69AD71D5
	v_add_u32_e32 v215, v213, v185                             // 0000000061B0: 69AF73D5
	v_add_u32_e32 v216, v213, v186                             // 0000000061B4: 69B175D5
	v_add_u32_e32 v217, v213, v187                             // 0000000061B8: 69B377D5
	ds_read_b128 v[36:39], v218 offset:17152                   // 0000000061BC: D9FE4300 240000DA
	ds_read_b128 v[40:43], v218 offset:17184                   // 0000000061C4: D9FE4320 280000DA
	s_waitcnt lgkmcnt(2)                                       // 0000000061CC: BF8CC27F
	v_mfma_f32_32x32x64_f8f6f4 v[52:67], v[28:35], v[12:19], v[52:67]// 0000000061D0: D3AE0034 04D2191C
	s_add_u32 m0, s72, 0                                       // 0000000061D8: 807C8048
	buffer_load_dwordx4 v214, s[16:19], 0 offen lds            // 0000000061DC: E05D1000 800400D6
	ds_read_b128 v[44:47], v218 offset:21312                   // 0000000061E4: D9FE5340 2C0000DA
	ds_read_b128 v[48:51], v218 offset:21344                   // 0000000061EC: D9FE5360 300000DA
	s_waitcnt lgkmcnt(2)                                       // 0000000061F4: BF8CC27F
	v_mfma_f32_32x32x64_f8f6f4 v[68:83], v[36:43], v[4:11], 0  // 0000000061F8: D3AE0044 02020924
	s_add_u32 m0, s72, 0x410                                   // 000000006200: 807CFF48 00000410
	buffer_load_dwordx4 v215, s[16:19], 0 offen lds            // 000000006208: E05D1000 800400D7
	ds_read_b128 v[20:23], v218 offset:24960                   // 000000006210: D9FE6180 140000DA
	ds_read_b128 v[24:27], v218 offset:24992                   // 000000006218: D9FE61A0 180000DA
	s_waitcnt lgkmcnt(2)                                       // 000000006220: BF8CC27F
	v_mfma_f32_32x32x64_f8f6f4 v[68:83], v[44:51], v[12:19], v[68:83]// 000000006224: D3AE0044 0512192C
	s_add_u32 m0, s72, 0x820                                   // 00000000622C: 807CFF48 00000820
	buffer_load_dwordx4 v216, s[16:19], 0 offen lds            // 000000006234: E05D1000 800400D8
	ds_read_b128 v[28:31], v218 offset:29120                   // 00000000623C: D9FE71C0 1C0000DA
	ds_read_b128 v[32:35], v218 offset:29152                   // 000000006244: D9FE71E0 200000DA
	s_waitcnt lgkmcnt(2)                                       // 00000000624C: BF8CC27F
	v_mfma_f32_32x32x64_f8f6f4 v[84:99], v[20:27], v[4:11], 0  // 000000006250: D3AE0054 02020914
	s_add_u32 m0, s72, 0xc30                                   // 000000006258: 807CFF48 00000C30
	buffer_load_dwordx4 v217, s[16:19], 0 offen lds            // 000000006260: E05D1000 800400D9
	ds_read_b128 v[36:39], v218 offset:25472                   // 000000006268: D9FE6380 240000DA
	ds_read_b128 v[40:43], v218 offset:25504                   // 000000006270: D9FE63A0 280000DA
	s_waitcnt lgkmcnt(2)                                       // 000000006278: BF8CC27F
	v_mfma_f32_32x32x64_f8f6f4 v[84:99], v[28:35], v[12:19], v[84:99]// 00000000627C: D3AE0054 0552191C
	ds_read_b128 v[44:47], v218 offset:29632                   // 000000006284: D9FE73C0 2C0000DA
	ds_read_b128 v[48:51], v218 offset:29664                   // 00000000628C: D9FE73E0 300000DA
	s_waitcnt lgkmcnt(2)                                       // 000000006294: BF8CC27F
	v_mfma_f32_32x32x64_f8f6f4 v[100:115], v[36:43], v[4:11], 0// 000000006298: D3AE0064 02020924
	ds_read_b64_tr_b8 v[20:21], v219 offset:16640              // 0000000062A0: D9C44100 140000DB
	ds_read_b64_tr_b8 v[22:23], v219 offset:16896              // 0000000062A8: D9C44200 160000DB
	ds_read_b64_tr_b8 v[24:25], v219 offset:17152              // 0000000062B0: D9C44300 180000DB
	ds_read_b64_tr_b8 v[26:27], v219 offset:17408              // 0000000062B8: D9C44400 1A0000DB
	s_waitcnt lgkmcnt(4)                                       // 0000000062C0: BF8CC47F
	v_mfma_f32_32x32x64_f8f6f4 v[100:115], v[44:51], v[12:19], v[100:115]// 0000000062C4: D3AE0064 0592192C
	ds_read_b64_tr_b8 v[28:29], v219 offset:24960              // 0000000062CC: D9C46180 1C0000DB
	ds_read_b64_tr_b8 v[30:31], v219 offset:25216              // 0000000062D4: D9C46280 1E0000DB
	ds_read_b64_tr_b8 v[32:33], v219 offset:25472              // 0000000062DC: D9C46380 200000DB
	ds_read_b64_tr_b8 v[34:35], v219 offset:25728              // 0000000062E4: D9C46480 220000DB
	s_nop 0                                                    // 0000000062EC: BF800000
	s_nop 4                                                    // 0000000062F0: BF800004
	s_barrier                                                  // 0000000062F4: BF8A0000
	s_setprio 0                                                // 0000000062F8: BF8F0000
	s_barrier                                                  // 0000000062FC: BF8A0000
	v_mov_b32_e32 v193, v192                                   // 000000006300: 7F8203C0
	v_max3_f32 v193, v52, v53, v193                            // 000000006304: D1D300C1 07066B34
	v_max3_f32 v193, v54, v55, v193                            // 00000000630C: D1D300C1 07066F36
	v_max3_f32 v193, v56, v57, v193                            // 000000006314: D1D300C1 07067338
	v_max3_f32 v193, v58, v59, v193                            // 00000000631C: D1D300C1 0706773A
	v_max3_f32 v193, v60, v61, v193                            // 000000006324: D1D300C1 07067B3C
	v_max3_f32 v193, v62, v63, v193                            // 00000000632C: D1D300C1 07067F3E
	v_max3_f32 v193, v64, v65, v193                            // 000000006334: D1D300C1 07068340
	v_max3_f32 v193, v66, v67, v193                            // 00000000633C: D1D300C1 07068742
	v_max3_f32 v193, v68, v69, v193                            // 000000006344: D1D300C1 07068B44
	v_max3_f32 v193, v70, v71, v193                            // 00000000634C: D1D300C1 07068F46
	v_max3_f32 v193, v72, v73, v193                            // 000000006354: D1D300C1 07069348
	v_max3_f32 v193, v74, v75, v193                            // 00000000635C: D1D300C1 0706974A
	v_max3_f32 v193, v76, v77, v193                            // 000000006364: D1D300C1 07069B4C
	v_max3_f32 v193, v78, v79, v193                            // 00000000636C: D1D300C1 07069F4E
	v_max3_f32 v193, v80, v81, v193                            // 000000006374: D1D300C1 0706A350
	v_max3_f32 v193, v82, v83, v193                            // 00000000637C: D1D300C1 0706A752
	v_max3_f32 v193, v84, v85, v193                            // 000000006384: D1D300C1 0706AB54
	v_max3_f32 v193, v86, v87, v193                            // 00000000638C: D1D300C1 0706AF56
	v_max3_f32 v193, v88, v89, v193                            // 000000006394: D1D300C1 0706B358
	v_max3_f32 v193, v90, v91, v193                            // 00000000639C: D1D300C1 0706B75A
	v_max3_f32 v193, v92, v93, v193                            // 0000000063A4: D1D300C1 0706BB5C
	v_max3_f32 v193, v94, v95, v193                            // 0000000063AC: D1D300C1 0706BF5E
	v_max3_f32 v193, v96, v97, v193                            // 0000000063B4: D1D300C1 0706C360
	v_max3_f32 v193, v98, v99, v193                            // 0000000063BC: D1D300C1 0706C762
	v_max3_f32 v193, v100, v101, v193                          // 0000000063C4: D1D300C1 0706CB64
	v_max3_f32 v193, v102, v103, v193                          // 0000000063CC: D1D300C1 0706CF66
	v_max3_f32 v193, v104, v105, v193                          // 0000000063D4: D1D300C1 0706D368
	v_max3_f32 v193, v106, v107, v193                          // 0000000063DC: D1D300C1 0706D76A
	v_max3_f32 v193, v108, v109, v193                          // 0000000063E4: D1D300C1 0706DB6C
	v_max3_f32 v193, v110, v111, v193                          // 0000000063EC: D1D300C1 0706DF6E
	v_max3_f32 v193, v112, v113, v193                          // 0000000063F4: D1D300C1 0706E370
	v_max3_f32 v193, v114, v115, v193                          // 0000000063FC: D1D300C1 0706E772
	v_mov_b32_e32 v184, v193                                   // 000000006404: 7F7003C1
	s_nop 1                                                    // 000000006408: BF800001
	s_nop 0                                                    // 00000000640C: BF800000
	v_permlane32_swap_b32_e32 v184, v193                       // 000000006410: 7F70B5C1
	v_max_f32_e32 v193, v193, v184                             // 000000006414: 178371C1
	v_cmp_eq_u32_e64 s[66:67], v197, v193                      // 000000006418: D0CA0042 000383C5
	s_nop 0                                                    // 000000006420: BF800000
	v_cndmask_b32_e64 v193, v193, 0, s[66:67]                  // 000000006424: D10000C1 010901C1
	v_mul_f32_e64 v184, -s26, v193                             // 00000000642C: D10500B8 2003821A
	v_mov_b32_e32 v185, v184                                   // 000000006434: 7F7203B8
	v_pk_fma_f32 v[52:53], v[52:53], s[26:27], v[184:185]      // 000000006438: D3B04034 1EE03534
	v_pk_fma_f32 v[54:55], v[54:55], s[26:27], v[184:185]      // 000000006440: D3B04036 1EE03536
	v_pk_fma_f32 v[56:57], v[56:57], s[26:27], v[184:185]      // 000000006448: D3B04038 1EE03538
	v_pk_fma_f32 v[58:59], v[58:59], s[26:27], v[184:185]      // 000000006450: D3B0403A 1EE0353A
	v_pk_fma_f32 v[60:61], v[60:61], s[26:27], v[184:185]      // 000000006458: D3B0403C 1EE0353C
	v_pk_fma_f32 v[62:63], v[62:63], s[26:27], v[184:185]      // 000000006460: D3B0403E 1EE0353E
	v_pk_fma_f32 v[64:65], v[64:65], s[26:27], v[184:185]      // 000000006468: D3B04040 1EE03540
	v_pk_fma_f32 v[66:67], v[66:67], s[26:27], v[184:185]      // 000000006470: D3B04042 1EE03542
	v_pk_fma_f32 v[68:69], v[68:69], s[26:27], v[184:185]      // 000000006478: D3B04044 1EE03544
	v_pk_fma_f32 v[70:71], v[70:71], s[26:27], v[184:185]      // 000000006480: D3B04046 1EE03546
	v_pk_fma_f32 v[72:73], v[72:73], s[26:27], v[184:185]      // 000000006488: D3B04048 1EE03548
	v_pk_fma_f32 v[74:75], v[74:75], s[26:27], v[184:185]      // 000000006490: D3B0404A 1EE0354A
	v_pk_fma_f32 v[76:77], v[76:77], s[26:27], v[184:185]      // 000000006498: D3B0404C 1EE0354C
	v_pk_fma_f32 v[78:79], v[78:79], s[26:27], v[184:185]      // 0000000064A0: D3B0404E 1EE0354E
	v_pk_fma_f32 v[80:81], v[80:81], s[26:27], v[184:185]      // 0000000064A8: D3B04050 1EE03550
	v_pk_fma_f32 v[82:83], v[82:83], s[26:27], v[184:185]      // 0000000064B0: D3B04052 1EE03552
	v_pk_fma_f32 v[84:85], v[84:85], s[26:27], v[184:185]      // 0000000064B8: D3B04054 1EE03554
	v_pk_fma_f32 v[86:87], v[86:87], s[26:27], v[184:185]      // 0000000064C0: D3B04056 1EE03556
	v_pk_fma_f32 v[88:89], v[88:89], s[26:27], v[184:185]      // 0000000064C8: D3B04058 1EE03558
	v_pk_fma_f32 v[90:91], v[90:91], s[26:27], v[184:185]      // 0000000064D0: D3B0405A 1EE0355A
	v_pk_fma_f32 v[92:93], v[92:93], s[26:27], v[184:185]      // 0000000064D8: D3B0405C 1EE0355C
	v_pk_fma_f32 v[94:95], v[94:95], s[26:27], v[184:185]      // 0000000064E0: D3B0405E 1EE0355E
	v_pk_fma_f32 v[96:97], v[96:97], s[26:27], v[184:185]      // 0000000064E8: D3B04060 1EE03560
	v_pk_fma_f32 v[98:99], v[98:99], s[26:27], v[184:185]      // 0000000064F0: D3B04062 1EE03562
	v_pk_fma_f32 v[100:101], v[100:101], s[26:27], v[184:185]  // 0000000064F8: D3B04064 1EE03564
	v_pk_fma_f32 v[102:103], v[102:103], s[26:27], v[184:185]  // 000000006500: D3B04066 1EE03566
	v_pk_fma_f32 v[104:105], v[104:105], s[26:27], v[184:185]  // 000000006508: D3B04068 1EE03568
	v_pk_fma_f32 v[106:107], v[106:107], s[26:27], v[184:185]  // 000000006510: D3B0406A 1EE0356A
	v_pk_fma_f32 v[108:109], v[108:109], s[26:27], v[184:185]  // 000000006518: D3B0406C 1EE0356C
	v_pk_fma_f32 v[110:111], v[110:111], s[26:27], v[184:185]  // 000000006520: D3B0406E 1EE0356E
	v_pk_fma_f32 v[112:113], v[112:113], s[26:27], v[184:185]  // 000000006528: D3B04070 1EE03570
	v_pk_fma_f32 v[114:115], v[114:115], s[26:27], v[184:185]  // 000000006530: D3B04072 1EE03572
	s_barrier                                                  // 000000006538: BF8A0000
	v_exp_f32_e32 v52, v52                                     // 00000000653C: 7E684134
	v_exp_f32_e32 v53, v53                                     // 000000006540: 7E6A4135
	v_exp_f32_e32 v54, v54                                     // 000000006544: 7E6C4136
	v_exp_f32_e32 v55, v55                                     // 000000006548: 7E6E4137
	v_exp_f32_e32 v56, v56                                     // 00000000654C: 7E704138
	v_exp_f32_e32 v57, v57                                     // 000000006550: 7E724139
	v_exp_f32_e32 v58, v58                                     // 000000006554: 7E74413A
	v_exp_f32_e32 v59, v59                                     // 000000006558: 7E76413B
	v_exp_f32_e32 v60, v60                                     // 00000000655C: 7E78413C
	v_exp_f32_e32 v61, v61                                     // 000000006560: 7E7A413D
	v_exp_f32_e32 v62, v62                                     // 000000006564: 7E7C413E
	v_exp_f32_e32 v63, v63                                     // 000000006568: 7E7E413F
	v_exp_f32_e32 v64, v64                                     // 00000000656C: 7E804140
	v_exp_f32_e32 v65, v65                                     // 000000006570: 7E824141
	v_exp_f32_e32 v66, v66                                     // 000000006574: 7E844142
	v_exp_f32_e32 v67, v67                                     // 000000006578: 7E864143
	v_exp_f32_e32 v68, v68                                     // 00000000657C: 7E884144
	v_exp_f32_e32 v69, v69                                     // 000000006580: 7E8A4145
	v_exp_f32_e32 v70, v70                                     // 000000006584: 7E8C4146
	v_exp_f32_e32 v71, v71                                     // 000000006588: 7E8E4147
	v_exp_f32_e32 v72, v72                                     // 00000000658C: 7E904148
	v_exp_f32_e32 v73, v73                                     // 000000006590: 7E924149
	v_exp_f32_e32 v74, v74                                     // 000000006594: 7E94414A
	v_exp_f32_e32 v75, v75                                     // 000000006598: 7E96414B
	v_exp_f32_e32 v76, v76                                     // 00000000659C: 7E98414C
	v_exp_f32_e32 v77, v77                                     // 0000000065A0: 7E9A414D
	v_exp_f32_e32 v78, v78                                     // 0000000065A4: 7E9C414E
	v_exp_f32_e32 v79, v79                                     // 0000000065A8: 7E9E414F
	v_exp_f32_e32 v80, v80                                     // 0000000065AC: 7EA04150
	v_exp_f32_e32 v81, v81                                     // 0000000065B0: 7EA24151
	v_exp_f32_e32 v82, v82                                     // 0000000065B4: 7EA44152
	v_exp_f32_e32 v83, v83                                     // 0000000065B8: 7EA64153
	v_exp_f32_e32 v84, v84                                     // 0000000065BC: 7EA84154
	v_exp_f32_e32 v85, v85                                     // 0000000065C0: 7EAA4155
	v_exp_f32_e32 v86, v86                                     // 0000000065C4: 7EAC4156
	v_exp_f32_e32 v87, v87                                     // 0000000065C8: 7EAE4157
	v_exp_f32_e32 v88, v88                                     // 0000000065CC: 7EB04158
	v_exp_f32_e32 v89, v89                                     // 0000000065D0: 7EB24159
	v_exp_f32_e32 v90, v90                                     // 0000000065D4: 7EB4415A
	v_exp_f32_e32 v91, v91                                     // 0000000065D8: 7EB6415B
	v_exp_f32_e32 v92, v92                                     // 0000000065DC: 7EB8415C
	v_exp_f32_e32 v93, v93                                     // 0000000065E0: 7EBA415D
	v_exp_f32_e32 v94, v94                                     // 0000000065E4: 7EBC415E
	v_exp_f32_e32 v95, v95                                     // 0000000065E8: 7EBE415F
	v_exp_f32_e32 v96, v96                                     // 0000000065EC: 7EC04160
	v_exp_f32_e32 v97, v97                                     // 0000000065F0: 7EC24161
	v_exp_f32_e32 v98, v98                                     // 0000000065F4: 7EC44162
	v_exp_f32_e32 v99, v99                                     // 0000000065F8: 7EC64163
	v_exp_f32_e32 v100, v100                                   // 0000000065FC: 7EC84164
	v_exp_f32_e32 v101, v101                                   // 000000006600: 7ECA4165
	v_exp_f32_e32 v102, v102                                   // 000000006604: 7ECC4166
	v_exp_f32_e32 v103, v103                                   // 000000006608: 7ECE4167
	v_exp_f32_e32 v104, v104                                   // 00000000660C: 7ED04168
	v_exp_f32_e32 v105, v105                                   // 000000006610: 7ED24169
	v_exp_f32_e32 v106, v106                                   // 000000006614: 7ED4416A
	v_exp_f32_e32 v107, v107                                   // 000000006618: 7ED6416B
	v_exp_f32_e32 v108, v108                                   // 00000000661C: 7ED8416C
	v_exp_f32_e32 v109, v109                                   // 000000006620: 7EDA416D
	v_exp_f32_e32 v110, v110                                   // 000000006624: 7EDC416E
	v_exp_f32_e32 v111, v111                                   // 000000006628: 7EDE416F
	v_exp_f32_e32 v112, v112                                   // 00000000662C: 7EE04170
	v_exp_f32_e32 v113, v113                                   // 000000006630: 7EE24171
	v_exp_f32_e32 v114, v114                                   // 000000006634: 7EE44172
	v_exp_f32_e32 v115, v115                                   // 000000006638: 7EE64173
	v_sub_f32_e32 v188, v192, v193                             // 00000000663C: 057983C0
	v_cmp_eq_u32_e64 s[66:67], v197, v192                      // 000000006640: D0CA0042 000381C5
	s_nop 0                                                    // 000000006648: BF800000
	v_cndmask_b32_e64 v188, v188, 0, s[66:67]                  // 00000000664C: D10000BC 010901BC
	v_mov_b32_e32 v192, v193                                   // 000000006654: 7F8003C1
	v_mul_f32_e32 v188, s26, v188                              // 000000006658: 0B79781A
	v_exp_f32_e32 v188, v188                                   // 00000000665C: 7F7841BC
	s_nop 0                                                    // 000000006660: BF800000
	v_mul_f32_e32 v190, v188, v190                             // 000000006664: 0B7D7DBC
	v_add_f32_e32 v190, v52, v190                              // 000000006668: 037D7D34
	v_add_f32_e32 v190, v53, v190                              // 00000000666C: 037D7D35
	v_add_f32_e32 v190, v54, v190                              // 000000006670: 037D7D36
	v_add_f32_e32 v190, v55, v190                              // 000000006674: 037D7D37
	v_add_f32_e32 v190, v56, v190                              // 000000006678: 037D7D38
	v_add_f32_e32 v190, v57, v190                              // 00000000667C: 037D7D39
	v_add_f32_e32 v190, v58, v190                              // 000000006680: 037D7D3A
	v_add_f32_e32 v190, v59, v190                              // 000000006684: 037D7D3B
	v_add_f32_e32 v190, v60, v190                              // 000000006688: 037D7D3C
	v_add_f32_e32 v190, v61, v190                              // 00000000668C: 037D7D3D
	v_add_f32_e32 v190, v62, v190                              // 000000006690: 037D7D3E
	v_add_f32_e32 v190, v63, v190                              // 000000006694: 037D7D3F
	v_add_f32_e32 v190, v64, v190                              // 000000006698: 037D7D40
	v_add_f32_e32 v190, v65, v190                              // 00000000669C: 037D7D41
	v_add_f32_e32 v190, v66, v190                              // 0000000066A0: 037D7D42
	v_add_f32_e32 v190, v67, v190                              // 0000000066A4: 037D7D43
	v_add_f32_e32 v190, v68, v190                              // 0000000066A8: 037D7D44
	v_add_f32_e32 v190, v69, v190                              // 0000000066AC: 037D7D45
	v_add_f32_e32 v190, v70, v190                              // 0000000066B0: 037D7D46
	v_add_f32_e32 v190, v71, v190                              // 0000000066B4: 037D7D47
	v_add_f32_e32 v190, v72, v190                              // 0000000066B8: 037D7D48
	v_add_f32_e32 v190, v73, v190                              // 0000000066BC: 037D7D49
	v_add_f32_e32 v190, v74, v190                              // 0000000066C0: 037D7D4A
	v_add_f32_e32 v190, v75, v190                              // 0000000066C4: 037D7D4B
	v_add_f32_e32 v190, v76, v190                              // 0000000066C8: 037D7D4C
	v_add_f32_e32 v190, v77, v190                              // 0000000066CC: 037D7D4D
	v_add_f32_e32 v190, v78, v190                              // 0000000066D0: 037D7D4E
	v_add_f32_e32 v190, v79, v190                              // 0000000066D4: 037D7D4F
	v_add_f32_e32 v190, v80, v190                              // 0000000066D8: 037D7D50
	v_add_f32_e32 v190, v81, v190                              // 0000000066DC: 037D7D51
	v_add_f32_e32 v190, v82, v190                              // 0000000066E0: 037D7D52
	v_add_f32_e32 v190, v83, v190                              // 0000000066E4: 037D7D53
	v_add_f32_e32 v190, v84, v190                              // 0000000066E8: 037D7D54
	v_add_f32_e32 v190, v85, v190                              // 0000000066EC: 037D7D55
	v_add_f32_e32 v190, v86, v190                              // 0000000066F0: 037D7D56
	v_add_f32_e32 v190, v87, v190                              // 0000000066F4: 037D7D57
	v_add_f32_e32 v190, v88, v190                              // 0000000066F8: 037D7D58
	v_add_f32_e32 v190, v89, v190                              // 0000000066FC: 037D7D59
	v_add_f32_e32 v190, v90, v190                              // 000000006700: 037D7D5A
	v_add_f32_e32 v190, v91, v190                              // 000000006704: 037D7D5B
	v_add_f32_e32 v190, v92, v190                              // 000000006708: 037D7D5C
	v_add_f32_e32 v190, v93, v190                              // 00000000670C: 037D7D5D
	v_add_f32_e32 v190, v94, v190                              // 000000006710: 037D7D5E
	v_add_f32_e32 v190, v95, v190                              // 000000006714: 037D7D5F
	v_add_f32_e32 v190, v96, v190                              // 000000006718: 037D7D60
	v_add_f32_e32 v190, v97, v190                              // 00000000671C: 037D7D61
	v_add_f32_e32 v190, v98, v190                              // 000000006720: 037D7D62
	v_add_f32_e32 v190, v99, v190                              // 000000006724: 037D7D63
	v_add_f32_e32 v190, v100, v190                             // 000000006728: 037D7D64
	v_add_f32_e32 v190, v101, v190                             // 00000000672C: 037D7D65
	v_add_f32_e32 v190, v102, v190                             // 000000006730: 037D7D66
	v_add_f32_e32 v190, v103, v190                             // 000000006734: 037D7D67
	v_add_f32_e32 v190, v104, v190                             // 000000006738: 037D7D68
	v_add_f32_e32 v190, v105, v190                             // 00000000673C: 037D7D69
	v_add_f32_e32 v190, v106, v190                             // 000000006740: 037D7D6A
	v_add_f32_e32 v190, v107, v190                             // 000000006744: 037D7D6B
	v_add_f32_e32 v190, v108, v190                             // 000000006748: 037D7D6C
	v_add_f32_e32 v190, v109, v190                             // 00000000674C: 037D7D6D
	v_add_f32_e32 v190, v110, v190                             // 000000006750: 037D7D6E
	v_add_f32_e32 v190, v111, v190                             // 000000006754: 037D7D6F
	v_add_f32_e32 v190, v112, v190                             // 000000006758: 037D7D70
	v_add_f32_e32 v190, v113, v190                             // 00000000675C: 037D7D71
	v_add_f32_e32 v190, v114, v190                             // 000000006760: 037D7D72
	v_add_f32_e32 v190, v115, v190                             // 000000006764: 037D7D73
	v_mul_f32_e32 v116, v188, v116                             // 000000006768: 0AE8E9BC
	v_mul_f32_e32 v117, v188, v117                             // 00000000676C: 0AEAEBBC
	v_mul_f32_e32 v118, v188, v118                             // 000000006770: 0AECEDBC
	v_mul_f32_e32 v119, v188, v119                             // 000000006774: 0AEEEFBC
	v_mul_f32_e32 v120, v188, v120                             // 000000006778: 0AF0F1BC
	v_mul_f32_e32 v121, v188, v121                             // 00000000677C: 0AF2F3BC
	v_mul_f32_e32 v122, v188, v122                             // 000000006780: 0AF4F5BC
	v_mul_f32_e32 v123, v188, v123                             // 000000006784: 0AF6F7BC
	v_mul_f32_e32 v124, v188, v124                             // 000000006788: 0AF8F9BC
	v_mul_f32_e32 v125, v188, v125                             // 00000000678C: 0AFAFBBC
	v_mul_f32_e32 v126, v188, v126                             // 000000006790: 0AFCFDBC
	v_mul_f32_e32 v127, v188, v127                             // 000000006794: 0AFEFFBC
	v_mul_f32_e32 v128, v188, v128                             // 000000006798: 0B0101BC
	v_mul_f32_e32 v129, v188, v129                             // 00000000679C: 0B0303BC
	v_mul_f32_e32 v130, v188, v130                             // 0000000067A0: 0B0505BC
	v_mul_f32_e32 v131, v188, v131                             // 0000000067A4: 0B0707BC
	v_mul_f32_e32 v132, v188, v132                             // 0000000067A8: 0B0909BC
	v_mul_f32_e32 v133, v188, v133                             // 0000000067AC: 0B0B0BBC
	v_mul_f32_e32 v134, v188, v134                             // 0000000067B0: 0B0D0DBC
	v_mul_f32_e32 v135, v188, v135                             // 0000000067B4: 0B0F0FBC
	v_mul_f32_e32 v136, v188, v136                             // 0000000067B8: 0B1111BC
	v_mul_f32_e32 v137, v188, v137                             // 0000000067BC: 0B1313BC
	v_mul_f32_e32 v138, v188, v138                             // 0000000067C0: 0B1515BC
	v_mul_f32_e32 v139, v188, v139                             // 0000000067C4: 0B1717BC
	v_mul_f32_e32 v140, v188, v140                             // 0000000067C8: 0B1919BC
	s_waitcnt vmcnt(0)                                         // 0000000067CC: BF8C0F70
	s_barrier                                                  // 0000000067D0: BF8A0000
	v_mul_f32_e32 v141, v188, v141                             // 0000000067D4: 0B1B1BBC
	v_mul_f32_e32 v142, v188, v142                             // 0000000067D8: 0B1D1DBC
	v_mul_f32_e32 v143, v188, v143                             // 0000000067DC: 0B1F1FBC
	v_mul_f32_e32 v144, v188, v144                             // 0000000067E0: 0B2121BC
	v_mul_f32_e32 v145, v188, v145                             // 0000000067E4: 0B2323BC
	v_mul_f32_e32 v146, v188, v146                             // 0000000067E8: 0B2525BC
	v_mul_f32_e32 v147, v188, v147                             // 0000000067EC: 0B2727BC
	v_mul_f32_e32 v148, v188, v148                             // 0000000067F0: 0B2929BC
	v_mul_f32_e32 v149, v188, v149                             // 0000000067F4: 0B2B2BBC
	v_mul_f32_e32 v150, v188, v150                             // 0000000067F8: 0B2D2DBC
	v_mul_f32_e32 v151, v188, v151                             // 0000000067FC: 0B2F2FBC
	v_mul_f32_e32 v152, v188, v152                             // 000000006800: 0B3131BC
	v_mul_f32_e32 v153, v188, v153                             // 000000006804: 0B3333BC
	v_mul_f32_e32 v154, v188, v154                             // 000000006808: 0B3535BC
	v_mul_f32_e32 v155, v188, v155                             // 00000000680C: 0B3737BC
	v_mul_f32_e32 v156, v188, v156                             // 000000006810: 0B3939BC
	v_mul_f32_e32 v157, v188, v157                             // 000000006814: 0B3B3BBC
	v_mul_f32_e32 v158, v188, v158                             // 000000006818: 0B3D3DBC
	v_mul_f32_e32 v159, v188, v159                             // 00000000681C: 0B3F3FBC
	v_mul_f32_e32 v160, v188, v160                             // 000000006820: 0B4141BC
	v_mul_f32_e32 v161, v188, v161                             // 000000006824: 0B4343BC
	v_mul_f32_e32 v162, v188, v162                             // 000000006828: 0B4545BC
	v_mul_f32_e32 v163, v188, v163                             // 00000000682C: 0B4747BC
	v_mul_f32_e32 v164, v188, v164                             // 000000006830: 0B4949BC
	v_mul_f32_e32 v165, v188, v165                             // 000000006834: 0B4B4BBC
	v_mul_f32_e32 v166, v188, v166                             // 000000006838: 0B4D4DBC
	v_mul_f32_e32 v167, v188, v167                             // 00000000683C: 0B4F4FBC
	v_mul_f32_e32 v168, v188, v168                             // 000000006840: 0B5151BC
	v_mul_f32_e32 v169, v188, v169                             // 000000006844: 0B5353BC
	v_mul_f32_e32 v170, v188, v170                             // 000000006848: 0B5555BC
	v_mul_f32_e32 v171, v188, v171                             // 00000000684C: 0B5757BC
	v_mul_f32_e32 v172, v188, v172                             // 000000006850: 0B5959BC
	v_mul_f32_e32 v173, v188, v173                             // 000000006854: 0B5B5BBC
	v_mul_f32_e32 v174, v188, v174                             // 000000006858: 0B5D5DBC
	v_mul_f32_e32 v175, v188, v175                             // 00000000685C: 0B5F5FBC
	v_mul_f32_e32 v176, v188, v176                             // 000000006860: 0B6161BC
	v_mul_f32_e32 v177, v188, v177                             // 000000006864: 0B6363BC
	v_mul_f32_e32 v178, v188, v178                             // 000000006868: 0B6565BC
	v_mul_f32_e32 v179, v188, v179                             // 00000000686C: 0B6767BC
	s_barrier                                                  // 000000006870: BF8A0000
	v_cvt_pk_fp8_f32 v52, v52, v53                             // 000000006874: D2A20034 00026B34
	v_cvt_pk_fp8_f32 v52, v54, v55 op_sel:[0,0,1]              // 00000000687C: D2A24034 00026F36
	v_cvt_pk_fp8_f32 v53, v56, v57                             // 000000006884: D2A20035 00027338
	v_cvt_pk_fp8_f32 v53, v58, v59 op_sel:[0,0,1]              // 00000000688C: D2A24035 0002773A
	v_cvt_pk_fp8_f32 v54, v60, v61                             // 000000006894: D2A20036 00027B3C
	v_cvt_pk_fp8_f32 v54, v62, v63 op_sel:[0,0,1]              // 00000000689C: D2A24036 00027F3E
	v_cvt_pk_fp8_f32 v55, v64, v65                             // 0000000068A4: D2A20037 00028340
	v_cvt_pk_fp8_f32 v55, v66, v67 op_sel:[0,0,1]              // 0000000068AC: D2A24037 00028742
	v_cvt_pk_fp8_f32 v56, v68, v69                             // 0000000068B4: D2A20038 00028B44
	v_cvt_pk_fp8_f32 v56, v70, v71 op_sel:[0,0,1]              // 0000000068BC: D2A24038 00028F46
	v_cvt_pk_fp8_f32 v57, v72, v73                             // 0000000068C4: D2A20039 00029348
	v_cvt_pk_fp8_f32 v57, v74, v75 op_sel:[0,0,1]              // 0000000068CC: D2A24039 0002974A
	v_cvt_pk_fp8_f32 v58, v76, v77                             // 0000000068D4: D2A2003A 00029B4C
	v_cvt_pk_fp8_f32 v58, v78, v79 op_sel:[0,0,1]              // 0000000068DC: D2A2403A 00029F4E
	v_cvt_pk_fp8_f32 v59, v80, v81                             // 0000000068E4: D2A2003B 0002A350
	v_cvt_pk_fp8_f32 v59, v82, v83 op_sel:[0,0,1]              // 0000000068EC: D2A2403B 0002A752
	v_cvt_pk_fp8_f32 v60, v84, v85                             // 0000000068F4: D2A2003C 0002AB54
	v_cvt_pk_fp8_f32 v60, v86, v87 op_sel:[0,0,1]              // 0000000068FC: D2A2403C 0002AF56
	v_cvt_pk_fp8_f32 v61, v88, v89                             // 000000006904: D2A2003D 0002B358
	v_cvt_pk_fp8_f32 v61, v90, v91 op_sel:[0,0,1]              // 00000000690C: D2A2403D 0002B75A
	v_cvt_pk_fp8_f32 v62, v92, v93                             // 000000006914: D2A2003E 0002BB5C
	v_cvt_pk_fp8_f32 v62, v94, v95 op_sel:[0,0,1]              // 00000000691C: D2A2403E 0002BF5E
	v_cvt_pk_fp8_f32 v63, v96, v97                             // 000000006924: D2A2003F 0002C360
	v_cvt_pk_fp8_f32 v63, v98, v99 op_sel:[0,0,1]              // 00000000692C: D2A2403F 0002C762
	v_cvt_pk_fp8_f32 v64, v100, v101                           // 000000006934: D2A20040 0002CB64
	v_cvt_pk_fp8_f32 v64, v102, v103 op_sel:[0,0,1]            // 00000000693C: D2A24040 0002CF66
	v_cvt_pk_fp8_f32 v65, v104, v105                           // 000000006944: D2A20041 0002D368
	v_cvt_pk_fp8_f32 v65, v106, v107 op_sel:[0,0,1]            // 00000000694C: D2A24041 0002D76A
	v_cvt_pk_fp8_f32 v66, v108, v109                           // 000000006954: D2A20042 0002DB6C
	v_cvt_pk_fp8_f32 v66, v110, v111 op_sel:[0,0,1]            // 00000000695C: D2A24042 0002DF6E
	v_cvt_pk_fp8_f32 v67, v112, v113                           // 000000006964: D2A20043 0002E370
	v_cvt_pk_fp8_f32 v67, v114, v115 op_sel:[0,0,1]            // 00000000696C: D2A24043 0002E772
	s_barrier                                                  // 000000006974: BF8A0000
	s_waitcnt lgkmcnt(8)                                       // 000000006978: BF8CC87F
	s_setprio 1                                                // 00000000697C: BF8F0001
	s_barrier                                                  // 000000006980: BF8A0000
	v_mfma_f32_32x32x64_f8f6f4 v[116:131], v[20:27], v[52:59], v[116:131]// 000000006984: D3AE0074 05D26914
	ds_read_b64_tr_b8 v[36:37], v219 offset:16672              // 00000000698C: D9C44120 240000DB
	ds_read_b64_tr_b8 v[38:39], v219 offset:16928              // 000000006994: D9C44220 260000DB
	ds_read_b64_tr_b8 v[40:41], v219 offset:17184              // 00000000699C: D9C44320 280000DB
	ds_read_b64_tr_b8 v[42:43], v219 offset:17440              // 0000000069A4: D9C44420 2A0000DB
	s_waitcnt lgkmcnt(8)                                       // 0000000069AC: BF8CC87F
	v_mfma_f32_32x32x64_f8f6f4 v[116:131], v[28:35], v[60:67], v[116:131]// 0000000069B0: D3AE0074 05D2791C
	ds_read_b64_tr_b8 v[44:45], v219 offset:24992              // 0000000069B8: D9C461A0 2C0000DB
	ds_read_b64_tr_b8 v[46:47], v219 offset:25248              // 0000000069C0: D9C462A0 2E0000DB
	ds_read_b64_tr_b8 v[48:49], v219 offset:25504              // 0000000069C8: D9C463A0 300000DB
	ds_read_b64_tr_b8 v[50:51], v219 offset:25760              // 0000000069D0: D9C464A0 320000DB
	s_waitcnt lgkmcnt(8)                                       // 0000000069D8: BF8CC87F
	v_mfma_f32_32x32x64_f8f6f4 v[132:147], v[36:43], v[52:59], v[132:147]// 0000000069DC: D3AE0084 06126924
	ds_read_b64_tr_b8 v[20:21], v219 offset:16704              // 0000000069E4: D9C44140 140000DB
	ds_read_b64_tr_b8 v[22:23], v219 offset:16960              // 0000000069EC: D9C44240 160000DB
	ds_read_b64_tr_b8 v[24:25], v219 offset:17216              // 0000000069F4: D9C44340 180000DB
	ds_read_b64_tr_b8 v[26:27], v219 offset:17472              // 0000000069FC: D9C44440 1A0000DB
	s_waitcnt lgkmcnt(8)                                       // 000000006A04: BF8CC87F
	v_mfma_f32_32x32x64_f8f6f4 v[132:147], v[44:51], v[60:67], v[132:147]// 000000006A08: D3AE0084 0612792C
	ds_read_b64_tr_b8 v[28:29], v219 offset:25024              // 000000006A10: D9C461C0 1C0000DB
	ds_read_b64_tr_b8 v[30:31], v219 offset:25280              // 000000006A18: D9C462C0 1E0000DB
	ds_read_b64_tr_b8 v[32:33], v219 offset:25536              // 000000006A20: D9C463C0 200000DB
	ds_read_b64_tr_b8 v[34:35], v219 offset:25792              // 000000006A28: D9C464C0 220000DB
	s_waitcnt lgkmcnt(8)                                       // 000000006A30: BF8CC87F
	v_mfma_f32_32x32x64_f8f6f4 v[148:163], v[20:27], v[52:59], v[148:163]// 000000006A34: D3AE0094 06526914
	ds_read_b64_tr_b8 v[36:37], v219 offset:16736              // 000000006A3C: D9C44160 240000DB
	ds_read_b64_tr_b8 v[38:39], v219 offset:16992              // 000000006A44: D9C44260 260000DB
	ds_read_b64_tr_b8 v[40:41], v219 offset:17248              // 000000006A4C: D9C44360 280000DB
	ds_read_b64_tr_b8 v[42:43], v219 offset:17504              // 000000006A54: D9C44460 2A0000DB
	s_waitcnt lgkmcnt(8)                                       // 000000006A5C: BF8CC87F
	v_mfma_f32_32x32x64_f8f6f4 v[148:163], v[28:35], v[60:67], v[148:163]// 000000006A60: D3AE0094 0652791C
	ds_read_b64_tr_b8 v[44:45], v219 offset:25056              // 000000006A68: D9C461E0 2C0000DB
	ds_read_b64_tr_b8 v[46:47], v219 offset:25312              // 000000006A70: D9C462E0 2E0000DB
	ds_read_b64_tr_b8 v[48:49], v219 offset:25568              // 000000006A78: D9C463E0 300000DB
	ds_read_b64_tr_b8 v[50:51], v219 offset:25824              // 000000006A80: D9C464E0 320000DB
	s_waitcnt lgkmcnt(8)                                       // 000000006A88: BF8CC87F
	v_mfma_f32_32x32x64_f8f6f4 v[164:179], v[36:43], v[52:59], v[164:179]// 000000006A8C: D3AE00A4 06926924
	ds_read_b128 v[20:23], v218                                // 000000006A94: D9FE0000 140000DA
	ds_read_b128 v[24:27], v218 offset:32                      // 000000006A9C: D9FE0020 180000DA
	s_waitcnt lgkmcnt(6)                                       // 000000006AA4: BF8CC67F
	v_mfma_f32_32x32x64_f8f6f4 v[164:179], v[44:51], v[60:67], v[164:179]// 000000006AA8: D3AE00A4 0692792C
	ds_read_b128 v[28:31], v218 offset:4160                    // 000000006AB0: D9FE1040 1C0000DA
	ds_read_b128 v[32:35], v218 offset:4192                    // 000000006AB8: D9FE1060 200000DA
	s_addk_i32 s68, 0x80                                       // 000000006AC0: B7440080
	s_branch label_1C14                                        // 000000006AC4: BF82FB53

0000000000006ac8 <label_2EC8>:
	s_cmp_lt_i32 s68, s43                                      // 000000006AC8: BF042B44
	s_cbranch_scc0 label_65F8                                  // 000000006ACC: BF840DCA
	s_waitcnt lgkmcnt(2)                                       // 000000006AD0: BF8CC27F
	v_mfma_f32_32x32x64_f8f6f4 v[52:67], v[20:27], v[4:11], 0  // 000000006AD4: D3AE0034 02020914
	v_mul_i32_i24_dpp v184, v180, v222 quad_perm:[2,2,2,2] row_mask:0xf bank_mask:0xf// 000000006ADC: 0D71BCFA FF00AAB4
	v_mul_i32_i24_dpp v185, v180, v222 quad_perm:[3,3,3,3] row_mask:0xf bank_mask:0xf// 000000006AE4: 0D73BCFA FF00FFB4
	v_add_u32_e32 v211, v210, v184                             // 000000006AEC: 69A771D2
	v_add_u32_e32 v212, v210, v185                             // 000000006AF0: 69A973D2
	ds_read_b128 v[36:39], v218 offset:512                     // 000000006AF4: D9FE0200 240000DA
	ds_read_b128 v[40:43], v218 offset:544                     // 000000006AFC: D9FE0220 280000DA
	s_waitcnt lgkmcnt(2)                                       // 000000006B04: BF8CC27F
	v_mfma_f32_32x32x64_f8f6f4 v[52:67], v[28:35], v[12:19], v[52:67]// 000000006B08: D3AE0034 04D2191C
	s_add_u32 m0, s71, 0x4100                                  // 000000006B10: 807CFF47 00004100
	buffer_load_dwordx4 v211, s[12:15], 0 offen lds            // 000000006B18: E05D1000 800300D3
	ds_read_b128 v[44:47], v218 offset:4672                    // 000000006B20: D9FE1240 2C0000DA
	ds_read_b128 v[48:51], v218 offset:4704                    // 000000006B28: D9FE1260 300000DA
	s_waitcnt lgkmcnt(2)                                       // 000000006B30: BF8CC27F
	v_mfma_f32_32x32x64_f8f6f4 v[68:83], v[36:43], v[4:11], 0  // 000000006B34: D3AE0044 02020924
	s_add_u32 m0, s71, 0x4510                                  // 000000006B3C: 807CFF47 00004510
	buffer_load_dwordx4 v212, s[12:15], 0 offen lds            // 000000006B44: E05D1000 800300D4
	ds_read_b128 v[20:23], v218 offset:8320                    // 000000006B4C: D9FE2080 140000DA
	ds_read_b128 v[24:27], v218 offset:8352                    // 000000006B54: D9FE20A0 180000DA
	s_waitcnt lgkmcnt(2)                                       // 000000006B5C: BF8CC27F
	v_mfma_f32_32x32x64_f8f6f4 v[68:83], v[44:51], v[12:19], v[68:83]// 000000006B60: D3AE0044 0512192C
	s_add_u32 m0, s71, 0x5100                                  // 000000006B68: 807CFF47 00005100
	buffer_load_dwordx4 v211, s[12:15], 0 offen offset:64 lds  // 000000006B70: E05D1040 800300D3
	ds_read_b128 v[28:31], v218 offset:12480                   // 000000006B78: D9FE30C0 1C0000DA
	ds_read_b128 v[32:35], v218 offset:12512                   // 000000006B80: D9FE30E0 200000DA
	s_waitcnt lgkmcnt(2)                                       // 000000006B88: BF8CC27F
	v_mfma_f32_32x32x64_f8f6f4 v[84:99], v[20:27], v[4:11], 0  // 000000006B8C: D3AE0054 02020914
	s_add_u32 m0, s71, 0x5510                                  // 000000006B94: 807CFF47 00005510
	buffer_load_dwordx4 v212, s[12:15], 0 offen offset:64 lds  // 000000006B9C: E05D1040 800300D4
	ds_read_b128 v[36:39], v218 offset:8832                    // 000000006BA4: D9FE2280 240000DA
	ds_read_b128 v[40:43], v218 offset:8864                    // 000000006BAC: D9FE22A0 280000DA
	s_waitcnt lgkmcnt(2)                                       // 000000006BB4: BF8CC27F
	v_mfma_f32_32x32x64_f8f6f4 v[84:99], v[28:35], v[12:19], v[84:99]// 000000006BB8: D3AE0054 0552191C
	v_lshrrev_b32_e32 v180, 2, v207                            // 000000006BC0: 21699E82
	v_add_u32_e32 v207, 0x400, v207                            // 000000006BC4: 699F9EFF 00000400
	ds_read_b128 v[44:47], v218 offset:12992                   // 000000006BCC: D9FE32C0 2C0000DA
	ds_read_b128 v[48:51], v218 offset:13024                   // 000000006BD4: D9FE32E0 300000DA
	s_waitcnt lgkmcnt(2)                                       // 000000006BDC: BF8CC27F
	v_mfma_f32_32x32x64_f8f6f4 v[100:115], v[36:43], v[4:11], 0// 000000006BE0: D3AE0064 02020924
	s_barrier                                                  // 000000006BE8: BF8A0000
	ds_read_b64_tr_b8 v[20:21], v219                           // 000000006BEC: D9C40000 140000DB
	ds_read_b64_tr_b8 v[22:23], v219 offset:256                // 000000006BF4: D9C40100 160000DB
	ds_read_b64_tr_b8 v[24:25], v219 offset:512                // 000000006BFC: D9C40200 180000DB
	ds_read_b64_tr_b8 v[26:27], v219 offset:768                // 000000006C04: D9C40300 1A0000DB
	s_waitcnt lgkmcnt(4)                                       // 000000006C0C: BF8CC47F
	v_mfma_f32_32x32x64_f8f6f4 v[100:115], v[44:51], v[12:19], v[100:115]// 000000006C10: D3AE0064 0592192C
	ds_read_b64_tr_b8 v[28:29], v219 offset:8320               // 000000006C18: D9C42080 1C0000DB
	ds_read_b64_tr_b8 v[30:31], v219 offset:8576               // 000000006C20: D9C42180 1E0000DB
	ds_read_b64_tr_b8 v[32:33], v219 offset:8832               // 000000006C28: D9C42280 200000DB
	ds_read_b64_tr_b8 v[34:35], v219 offset:9088               // 000000006C30: D9C42380 220000DB
	s_nop 5                                                    // 000000006C38: BF800005
	s_barrier                                                  // 000000006C3C: BF8A0000
	s_setprio 0                                                // 000000006C40: BF8F0000
	s_barrier                                                  // 000000006C44: BF8A0000
	v_add_u32_e32 v184, s68, v195                              // 000000006C48: 69718644
	v_add_u32_e32 v185, 0, v184                                // 000000006C4C: 69737080
	v_cmp_lt_i32_e32 vcc, v185, v194                           // 000000006C50: 7D8385B9
	s_nop 0                                                    // 000000006C54: BF800000
	v_cndmask_b32_e32 v52, v197, v52, vcc                      // 000000006C58: 006869C5
	v_add_u32_e32 v185, 1, v184                                // 000000006C5C: 69737081
	v_cmp_lt_i32_e32 vcc, v185, v194                           // 000000006C60: 7D8385B9
	s_nop 0                                                    // 000000006C64: BF800000
	v_cndmask_b32_e32 v53, v197, v53, vcc                      // 000000006C68: 006A6BC5
	v_add_u32_e32 v185, 2, v184                                // 000000006C6C: 69737082
	v_cmp_lt_i32_e32 vcc, v185, v194                           // 000000006C70: 7D8385B9
	s_nop 0                                                    // 000000006C74: BF800000
	v_cndmask_b32_e32 v54, v197, v54, vcc                      // 000000006C78: 006C6DC5
	v_add_u32_e32 v185, 3, v184                                // 000000006C7C: 69737083
	v_cmp_lt_i32_e32 vcc, v185, v194                           // 000000006C80: 7D8385B9
	s_nop 0                                                    // 000000006C84: BF800000
	v_cndmask_b32_e32 v55, v197, v55, vcc                      // 000000006C88: 006E6FC5
	v_add_u32_e32 v185, 8, v184                                // 000000006C8C: 69737088
	v_cmp_lt_i32_e32 vcc, v185, v194                           // 000000006C90: 7D8385B9
	s_nop 0                                                    // 000000006C94: BF800000
	v_cndmask_b32_e32 v56, v197, v56, vcc                      // 000000006C98: 007071C5
	v_add_u32_e32 v185, 9, v184                                // 000000006C9C: 69737089
	v_cmp_lt_i32_e32 vcc, v185, v194                           // 000000006CA0: 7D8385B9
	s_nop 0                                                    // 000000006CA4: BF800000
	v_cndmask_b32_e32 v57, v197, v57, vcc                      // 000000006CA8: 007273C5
	v_add_u32_e32 v185, 10, v184                               // 000000006CAC: 6973708A
	v_cmp_lt_i32_e32 vcc, v185, v194                           // 000000006CB0: 7D8385B9
	s_nop 0                                                    // 000000006CB4: BF800000
	v_cndmask_b32_e32 v58, v197, v58, vcc                      // 000000006CB8: 007475C5
	v_add_u32_e32 v185, 11, v184                               // 000000006CBC: 6973708B
	v_cmp_lt_i32_e32 vcc, v185, v194                           // 000000006CC0: 7D8385B9
	s_nop 0                                                    // 000000006CC4: BF800000
	v_cndmask_b32_e32 v59, v197, v59, vcc                      // 000000006CC8: 007677C5
	v_add_u32_e32 v185, 16, v184                               // 000000006CCC: 69737090
	v_cmp_lt_i32_e32 vcc, v185, v194                           // 000000006CD0: 7D8385B9
	s_nop 0                                                    // 000000006CD4: BF800000
	v_cndmask_b32_e32 v60, v197, v60, vcc                      // 000000006CD8: 007879C5
	v_add_u32_e32 v185, 17, v184                               // 000000006CDC: 69737091
	v_cmp_lt_i32_e32 vcc, v185, v194                           // 000000006CE0: 7D8385B9
	s_nop 0                                                    // 000000006CE4: BF800000
	v_cndmask_b32_e32 v61, v197, v61, vcc                      // 000000006CE8: 007A7BC5
	v_add_u32_e32 v185, 18, v184                               // 000000006CEC: 69737092
	v_cmp_lt_i32_e32 vcc, v185, v194                           // 000000006CF0: 7D8385B9
	s_nop 0                                                    // 000000006CF4: BF800000
	v_cndmask_b32_e32 v62, v197, v62, vcc                      // 000000006CF8: 007C7DC5
	v_add_u32_e32 v185, 19, v184                               // 000000006CFC: 69737093
	v_cmp_lt_i32_e32 vcc, v185, v194                           // 000000006D00: 7D8385B9
	s_nop 0                                                    // 000000006D04: BF800000
	v_cndmask_b32_e32 v63, v197, v63, vcc                      // 000000006D08: 007E7FC5
	v_add_u32_e32 v185, 24, v184                               // 000000006D0C: 69737098
	v_cmp_lt_i32_e32 vcc, v185, v194                           // 000000006D10: 7D8385B9
	s_nop 0                                                    // 000000006D14: BF800000
	v_cndmask_b32_e32 v64, v197, v64, vcc                      // 000000006D18: 008081C5
	v_add_u32_e32 v185, 25, v184                               // 000000006D1C: 69737099
	v_cmp_lt_i32_e32 vcc, v185, v194                           // 000000006D20: 7D8385B9
	s_nop 0                                                    // 000000006D24: BF800000
	v_cndmask_b32_e32 v65, v197, v65, vcc                      // 000000006D28: 008283C5
	v_add_u32_e32 v185, 26, v184                               // 000000006D2C: 6973709A
	v_cmp_lt_i32_e32 vcc, v185, v194                           // 000000006D30: 7D8385B9
	s_nop 0                                                    // 000000006D34: BF800000
	v_cndmask_b32_e32 v66, v197, v66, vcc                      // 000000006D38: 008485C5
	v_add_u32_e32 v185, 27, v184                               // 000000006D3C: 6973709B
	v_cmp_lt_i32_e32 vcc, v185, v194                           // 000000006D40: 7D8385B9
	s_nop 0                                                    // 000000006D44: BF800000
	v_cndmask_b32_e32 v67, v197, v67, vcc                      // 000000006D48: 008687C5
	v_add_u32_e32 v185, 32, v184                               // 000000006D4C: 697370A0
	v_cmp_lt_i32_e32 vcc, v185, v194                           // 000000006D50: 7D8385B9
	s_nop 0                                                    // 000000006D54: BF800000
	v_cndmask_b32_e32 v68, v197, v68, vcc                      // 000000006D58: 008889C5
	v_add_u32_e32 v185, 33, v184                               // 000000006D5C: 697370A1
	v_cmp_lt_i32_e32 vcc, v185, v194                           // 000000006D60: 7D8385B9
	s_nop 0                                                    // 000000006D64: BF800000
	v_cndmask_b32_e32 v69, v197, v69, vcc                      // 000000006D68: 008A8BC5
	v_add_u32_e32 v185, 34, v184                               // 000000006D6C: 697370A2
	v_cmp_lt_i32_e32 vcc, v185, v194                           // 000000006D70: 7D8385B9
	s_nop 0                                                    // 000000006D74: BF800000
	v_cndmask_b32_e32 v70, v197, v70, vcc                      // 000000006D78: 008C8DC5
	v_add_u32_e32 v185, 35, v184                               // 000000006D7C: 697370A3
	v_cmp_lt_i32_e32 vcc, v185, v194                           // 000000006D80: 7D8385B9
	s_nop 0                                                    // 000000006D84: BF800000
	v_cndmask_b32_e32 v71, v197, v71, vcc                      // 000000006D88: 008E8FC5
	v_add_u32_e32 v185, 40, v184                               // 000000006D8C: 697370A8
	v_cmp_lt_i32_e32 vcc, v185, v194                           // 000000006D90: 7D8385B9
	s_nop 0                                                    // 000000006D94: BF800000
	v_cndmask_b32_e32 v72, v197, v72, vcc                      // 000000006D98: 009091C5
	v_add_u32_e32 v185, 41, v184                               // 000000006D9C: 697370A9
	v_cmp_lt_i32_e32 vcc, v185, v194                           // 000000006DA0: 7D8385B9
	s_nop 0                                                    // 000000006DA4: BF800000
	v_cndmask_b32_e32 v73, v197, v73, vcc                      // 000000006DA8: 009293C5
	v_add_u32_e32 v185, 42, v184                               // 000000006DAC: 697370AA
	v_cmp_lt_i32_e32 vcc, v185, v194                           // 000000006DB0: 7D8385B9
	s_nop 0                                                    // 000000006DB4: BF800000
	v_cndmask_b32_e32 v74, v197, v74, vcc                      // 000000006DB8: 009495C5
	v_add_u32_e32 v185, 43, v184                               // 000000006DBC: 697370AB
	v_cmp_lt_i32_e32 vcc, v185, v194                           // 000000006DC0: 7D8385B9
	s_nop 0                                                    // 000000006DC4: BF800000
	v_cndmask_b32_e32 v75, v197, v75, vcc                      // 000000006DC8: 009697C5
	v_add_u32_e32 v185, 48, v184                               // 000000006DCC: 697370B0
	v_cmp_lt_i32_e32 vcc, v185, v194                           // 000000006DD0: 7D8385B9
	s_nop 0                                                    // 000000006DD4: BF800000
	v_cndmask_b32_e32 v76, v197, v76, vcc                      // 000000006DD8: 009899C5
	v_add_u32_e32 v185, 49, v184                               // 000000006DDC: 697370B1
	v_cmp_lt_i32_e32 vcc, v185, v194                           // 000000006DE0: 7D8385B9
	s_nop 0                                                    // 000000006DE4: BF800000
	v_cndmask_b32_e32 v77, v197, v77, vcc                      // 000000006DE8: 009A9BC5
	v_add_u32_e32 v185, 50, v184                               // 000000006DEC: 697370B2
	v_cmp_lt_i32_e32 vcc, v185, v194                           // 000000006DF0: 7D8385B9
	s_nop 0                                                    // 000000006DF4: BF800000
	v_cndmask_b32_e32 v78, v197, v78, vcc                      // 000000006DF8: 009C9DC5
	v_add_u32_e32 v185, 51, v184                               // 000000006DFC: 697370B3
	v_cmp_lt_i32_e32 vcc, v185, v194                           // 000000006E00: 7D8385B9
	s_nop 0                                                    // 000000006E04: BF800000
	v_cndmask_b32_e32 v79, v197, v79, vcc                      // 000000006E08: 009E9FC5
	v_add_u32_e32 v185, 56, v184                               // 000000006E0C: 697370B8
	v_cmp_lt_i32_e32 vcc, v185, v194                           // 000000006E10: 7D8385B9
	s_nop 0                                                    // 000000006E14: BF800000
	v_cndmask_b32_e32 v80, v197, v80, vcc                      // 000000006E18: 00A0A1C5
	v_add_u32_e32 v185, 57, v184                               // 000000006E1C: 697370B9
	v_cmp_lt_i32_e32 vcc, v185, v194                           // 000000006E20: 7D8385B9
	s_nop 0                                                    // 000000006E24: BF800000
	v_cndmask_b32_e32 v81, v197, v81, vcc                      // 000000006E28: 00A2A3C5
	v_add_u32_e32 v185, 58, v184                               // 000000006E2C: 697370BA
	v_cmp_lt_i32_e32 vcc, v185, v194                           // 000000006E30: 7D8385B9
	s_nop 0                                                    // 000000006E34: BF800000
	v_cndmask_b32_e32 v82, v197, v82, vcc                      // 000000006E38: 00A4A5C5
	v_add_u32_e32 v185, 59, v184                               // 000000006E3C: 697370BB
	v_cmp_lt_i32_e32 vcc, v185, v194                           // 000000006E40: 7D8385B9
	s_nop 0                                                    // 000000006E44: BF800000
	v_cndmask_b32_e32 v83, v197, v83, vcc                      // 000000006E48: 00A6A7C5
	v_add_u32_e32 v185, 64, v184                               // 000000006E4C: 697370C0
	v_cmp_lt_i32_e32 vcc, v185, v194                           // 000000006E50: 7D8385B9
	s_nop 0                                                    // 000000006E54: BF800000
	v_cndmask_b32_e32 v84, v197, v84, vcc                      // 000000006E58: 00A8A9C5
	v_add_u32_e32 v185, 0x41, v184                             // 000000006E5C: 697370FF 00000041
	v_cmp_lt_i32_e32 vcc, v185, v194                           // 000000006E64: 7D8385B9
	s_nop 0                                                    // 000000006E68: BF800000
	v_cndmask_b32_e32 v85, v197, v85, vcc                      // 000000006E6C: 00AAABC5
	v_add_u32_e32 v185, 0x42, v184                             // 000000006E70: 697370FF 00000042
	v_cmp_lt_i32_e32 vcc, v185, v194                           // 000000006E78: 7D8385B9
	s_nop 0                                                    // 000000006E7C: BF800000
	v_cndmask_b32_e32 v86, v197, v86, vcc                      // 000000006E80: 00ACADC5
	v_add_u32_e32 v185, 0x43, v184                             // 000000006E84: 697370FF 00000043
	v_cmp_lt_i32_e32 vcc, v185, v194                           // 000000006E8C: 7D8385B9
	s_nop 0                                                    // 000000006E90: BF800000
	v_cndmask_b32_e32 v87, v197, v87, vcc                      // 000000006E94: 00AEAFC5
	v_add_u32_e32 v185, 0x48, v184                             // 000000006E98: 697370FF 00000048
	v_cmp_lt_i32_e32 vcc, v185, v194                           // 000000006EA0: 7D8385B9
	s_nop 0                                                    // 000000006EA4: BF800000
	v_cndmask_b32_e32 v88, v197, v88, vcc                      // 000000006EA8: 00B0B1C5
	v_add_u32_e32 v185, 0x49, v184                             // 000000006EAC: 697370FF 00000049
	v_cmp_lt_i32_e32 vcc, v185, v194                           // 000000006EB4: 7D8385B9
	s_nop 0                                                    // 000000006EB8: BF800000
	v_cndmask_b32_e32 v89, v197, v89, vcc                      // 000000006EBC: 00B2B3C5
	v_add_u32_e32 v185, 0x4a, v184                             // 000000006EC0: 697370FF 0000004A
	v_cmp_lt_i32_e32 vcc, v185, v194                           // 000000006EC8: 7D8385B9
	s_nop 0                                                    // 000000006ECC: BF800000
	v_cndmask_b32_e32 v90, v197, v90, vcc                      // 000000006ED0: 00B4B5C5
	v_add_u32_e32 v185, 0x4b, v184                             // 000000006ED4: 697370FF 0000004B
	v_cmp_lt_i32_e32 vcc, v185, v194                           // 000000006EDC: 7D8385B9
	s_nop 0                                                    // 000000006EE0: BF800000
	v_cndmask_b32_e32 v91, v197, v91, vcc                      // 000000006EE4: 00B6B7C5
	v_add_u32_e32 v185, 0x50, v184                             // 000000006EE8: 697370FF 00000050
	v_cmp_lt_i32_e32 vcc, v185, v194                           // 000000006EF0: 7D8385B9
	s_nop 0                                                    // 000000006EF4: BF800000
	v_cndmask_b32_e32 v92, v197, v92, vcc                      // 000000006EF8: 00B8B9C5
	v_add_u32_e32 v185, 0x51, v184                             // 000000006EFC: 697370FF 00000051
	v_cmp_lt_i32_e32 vcc, v185, v194                           // 000000006F04: 7D8385B9
	s_nop 0                                                    // 000000006F08: BF800000
	v_cndmask_b32_e32 v93, v197, v93, vcc                      // 000000006F0C: 00BABBC5
	v_add_u32_e32 v185, 0x52, v184                             // 000000006F10: 697370FF 00000052
	v_cmp_lt_i32_e32 vcc, v185, v194                           // 000000006F18: 7D8385B9
	s_nop 0                                                    // 000000006F1C: BF800000
	v_cndmask_b32_e32 v94, v197, v94, vcc                      // 000000006F20: 00BCBDC5
	v_add_u32_e32 v185, 0x53, v184                             // 000000006F24: 697370FF 00000053
	v_cmp_lt_i32_e32 vcc, v185, v194                           // 000000006F2C: 7D8385B9
	s_nop 0                                                    // 000000006F30: BF800000
	v_cndmask_b32_e32 v95, v197, v95, vcc                      // 000000006F34: 00BEBFC5
	v_add_u32_e32 v185, 0x58, v184                             // 000000006F38: 697370FF 00000058
	v_cmp_lt_i32_e32 vcc, v185, v194                           // 000000006F40: 7D8385B9
	s_nop 0                                                    // 000000006F44: BF800000
	v_cndmask_b32_e32 v96, v197, v96, vcc                      // 000000006F48: 00C0C1C5
	v_add_u32_e32 v185, 0x59, v184                             // 000000006F4C: 697370FF 00000059
	v_cmp_lt_i32_e32 vcc, v185, v194                           // 000000006F54: 7D8385B9
	s_nop 0                                                    // 000000006F58: BF800000
	v_cndmask_b32_e32 v97, v197, v97, vcc                      // 000000006F5C: 00C2C3C5
	v_add_u32_e32 v185, 0x5a, v184                             // 000000006F60: 697370FF 0000005A
	v_cmp_lt_i32_e32 vcc, v185, v194                           // 000000006F68: 7D8385B9
	s_nop 0                                                    // 000000006F6C: BF800000
	v_cndmask_b32_e32 v98, v197, v98, vcc                      // 000000006F70: 00C4C5C5
	v_add_u32_e32 v185, 0x5b, v184                             // 000000006F74: 697370FF 0000005B
	v_cmp_lt_i32_e32 vcc, v185, v194                           // 000000006F7C: 7D8385B9
	s_nop 0                                                    // 000000006F80: BF800000
	v_cndmask_b32_e32 v99, v197, v99, vcc                      // 000000006F84: 00C6C7C5
	v_add_u32_e32 v185, 0x60, v184                             // 000000006F88: 697370FF 00000060
	v_cmp_lt_i32_e32 vcc, v185, v194                           // 000000006F90: 7D8385B9
	s_nop 0                                                    // 000000006F94: BF800000
	v_cndmask_b32_e32 v100, v197, v100, vcc                    // 000000006F98: 00C8C9C5
	v_add_u32_e32 v185, 0x61, v184                             // 000000006F9C: 697370FF 00000061
	v_cmp_lt_i32_e32 vcc, v185, v194                           // 000000006FA4: 7D8385B9
	s_nop 0                                                    // 000000006FA8: BF800000
	v_cndmask_b32_e32 v101, v197, v101, vcc                    // 000000006FAC: 00CACBC5
	v_add_u32_e32 v185, 0x62, v184                             // 000000006FB0: 697370FF 00000062
	v_cmp_lt_i32_e32 vcc, v185, v194                           // 000000006FB8: 7D8385B9
	s_nop 0                                                    // 000000006FBC: BF800000
	v_cndmask_b32_e32 v102, v197, v102, vcc                    // 000000006FC0: 00CCCDC5
	v_add_u32_e32 v185, 0x63, v184                             // 000000006FC4: 697370FF 00000063
	v_cmp_lt_i32_e32 vcc, v185, v194                           // 000000006FCC: 7D8385B9
	s_nop 0                                                    // 000000006FD0: BF800000
	v_cndmask_b32_e32 v103, v197, v103, vcc                    // 000000006FD4: 00CECFC5
	v_add_u32_e32 v185, 0x68, v184                             // 000000006FD8: 697370FF 00000068
	v_cmp_lt_i32_e32 vcc, v185, v194                           // 000000006FE0: 7D8385B9
	s_nop 0                                                    // 000000006FE4: BF800000
	v_cndmask_b32_e32 v104, v197, v104, vcc                    // 000000006FE8: 00D0D1C5
	v_add_u32_e32 v185, 0x69, v184                             // 000000006FEC: 697370FF 00000069
	v_cmp_lt_i32_e32 vcc, v185, v194                           // 000000006FF4: 7D8385B9
	s_nop 0                                                    // 000000006FF8: BF800000
	v_cndmask_b32_e32 v105, v197, v105, vcc                    // 000000006FFC: 00D2D3C5
	v_add_u32_e32 v185, 0x6a, v184                             // 000000007000: 697370FF 0000006A
	v_cmp_lt_i32_e32 vcc, v185, v194                           // 000000007008: 7D8385B9
	s_nop 0                                                    // 00000000700C: BF800000
	v_cndmask_b32_e32 v106, v197, v106, vcc                    // 000000007010: 00D4D5C5
	v_add_u32_e32 v185, 0x6b, v184                             // 000000007014: 697370FF 0000006B
	v_cmp_lt_i32_e32 vcc, v185, v194                           // 00000000701C: 7D8385B9
	s_nop 0                                                    // 000000007020: BF800000
	v_cndmask_b32_e32 v107, v197, v107, vcc                    // 000000007024: 00D6D7C5
	v_add_u32_e32 v185, 0x70, v184                             // 000000007028: 697370FF 00000070
	v_cmp_lt_i32_e32 vcc, v185, v194                           // 000000007030: 7D8385B9
	s_nop 0                                                    // 000000007034: BF800000
	v_cndmask_b32_e32 v108, v197, v108, vcc                    // 000000007038: 00D8D9C5
	v_add_u32_e32 v185, 0x71, v184                             // 00000000703C: 697370FF 00000071
	v_cmp_lt_i32_e32 vcc, v185, v194                           // 000000007044: 7D8385B9
	s_nop 0                                                    // 000000007048: BF800000
	v_cndmask_b32_e32 v109, v197, v109, vcc                    // 00000000704C: 00DADBC5
	v_add_u32_e32 v185, 0x72, v184                             // 000000007050: 697370FF 00000072
	v_cmp_lt_i32_e32 vcc, v185, v194                           // 000000007058: 7D8385B9
	s_nop 0                                                    // 00000000705C: BF800000
	v_cndmask_b32_e32 v110, v197, v110, vcc                    // 000000007060: 00DCDDC5
	v_add_u32_e32 v185, 0x73, v184                             // 000000007064: 697370FF 00000073
	v_cmp_lt_i32_e32 vcc, v185, v194                           // 00000000706C: 7D8385B9
	s_nop 0                                                    // 000000007070: BF800000
	v_cndmask_b32_e32 v111, v197, v111, vcc                    // 000000007074: 00DEDFC5
	v_add_u32_e32 v185, 0x78, v184                             // 000000007078: 697370FF 00000078
	v_cmp_lt_i32_e32 vcc, v185, v194                           // 000000007080: 7D8385B9
	s_nop 0                                                    // 000000007084: BF800000
	v_cndmask_b32_e32 v112, v197, v112, vcc                    // 000000007088: 00E0E1C5
	v_add_u32_e32 v185, 0x79, v184                             // 00000000708C: 697370FF 00000079
	v_cmp_lt_i32_e32 vcc, v185, v194                           // 000000007094: 7D8385B9
	s_nop 0                                                    // 000000007098: BF800000
	v_cndmask_b32_e32 v113, v197, v113, vcc                    // 00000000709C: 00E2E3C5
	v_add_u32_e32 v185, 0x7a, v184                             // 0000000070A0: 697370FF 0000007A
	v_cmp_lt_i32_e32 vcc, v185, v194                           // 0000000070A8: 7D8385B9
	s_nop 0                                                    // 0000000070AC: BF800000
	v_cndmask_b32_e32 v114, v197, v114, vcc                    // 0000000070B0: 00E4E5C5
	v_add_u32_e32 v185, 0x7b, v184                             // 0000000070B4: 697370FF 0000007B
	v_cmp_lt_i32_e32 vcc, v185, v194                           // 0000000070BC: 7D8385B9
	s_nop 0                                                    // 0000000070C0: BF800000
	v_cndmask_b32_e32 v115, v197, v115, vcc                    // 0000000070C4: 00E6E7C5
	v_mov_b32_e32 v193, v192                                   // 0000000070C8: 7F8203C0
	v_max3_f32 v193, v52, v53, v193                            // 0000000070CC: D1D300C1 07066B34
	v_max3_f32 v193, v54, v55, v193                            // 0000000070D4: D1D300C1 07066F36
	v_max3_f32 v193, v56, v57, v193                            // 0000000070DC: D1D300C1 07067338
	v_max3_f32 v193, v58, v59, v193                            // 0000000070E4: D1D300C1 0706773A
	v_max3_f32 v193, v60, v61, v193                            // 0000000070EC: D1D300C1 07067B3C
	v_max3_f32 v193, v62, v63, v193                            // 0000000070F4: D1D300C1 07067F3E
	v_max3_f32 v193, v64, v65, v193                            // 0000000070FC: D1D300C1 07068340
	v_max3_f32 v193, v66, v67, v193                            // 000000007104: D1D300C1 07068742
	v_max3_f32 v193, v68, v69, v193                            // 00000000710C: D1D300C1 07068B44
	v_max3_f32 v193, v70, v71, v193                            // 000000007114: D1D300C1 07068F46
	v_max3_f32 v193, v72, v73, v193                            // 00000000711C: D1D300C1 07069348
	v_max3_f32 v193, v74, v75, v193                            // 000000007124: D1D300C1 0706974A
	v_max3_f32 v193, v76, v77, v193                            // 00000000712C: D1D300C1 07069B4C
	v_max3_f32 v193, v78, v79, v193                            // 000000007134: D1D300C1 07069F4E
	v_max3_f32 v193, v80, v81, v193                            // 00000000713C: D1D300C1 0706A350
	v_max3_f32 v193, v82, v83, v193                            // 000000007144: D1D300C1 0706A752
	v_max3_f32 v193, v84, v85, v193                            // 00000000714C: D1D300C1 0706AB54
	v_max3_f32 v193, v86, v87, v193                            // 000000007154: D1D300C1 0706AF56
	v_max3_f32 v193, v88, v89, v193                            // 00000000715C: D1D300C1 0706B358
	v_max3_f32 v193, v90, v91, v193                            // 000000007164: D1D300C1 0706B75A
	v_max3_f32 v193, v92, v93, v193                            // 00000000716C: D1D300C1 0706BB5C
	v_max3_f32 v193, v94, v95, v193                            // 000000007174: D1D300C1 0706BF5E
	v_max3_f32 v193, v96, v97, v193                            // 00000000717C: D1D300C1 0706C360
	v_max3_f32 v193, v98, v99, v193                            // 000000007184: D1D300C1 0706C762
	v_max3_f32 v193, v100, v101, v193                          // 00000000718C: D1D300C1 0706CB64
	v_max3_f32 v193, v102, v103, v193                          // 000000007194: D1D300C1 0706CF66
	v_max3_f32 v193, v104, v105, v193                          // 00000000719C: D1D300C1 0706D368
	v_max3_f32 v193, v106, v107, v193                          // 0000000071A4: D1D300C1 0706D76A
	v_max3_f32 v193, v108, v109, v193                          // 0000000071AC: D1D300C1 0706DB6C
	v_max3_f32 v193, v110, v111, v193                          // 0000000071B4: D1D300C1 0706DF6E
	v_max3_f32 v193, v112, v113, v193                          // 0000000071BC: D1D300C1 0706E370
	v_max3_f32 v193, v114, v115, v193                          // 0000000071C4: D1D300C1 0706E772
	v_mov_b32_e32 v184, v193                                   // 0000000071CC: 7F7003C1
	s_nop 1                                                    // 0000000071D0: BF800001
	s_nop 0                                                    // 0000000071D4: BF800000
	v_permlane32_swap_b32_e32 v184, v193                       // 0000000071D8: 7F70B5C1
	v_max_f32_e32 v193, v193, v184                             // 0000000071DC: 178371C1
	v_cmp_eq_u32_e64 s[66:67], v197, v193                      // 0000000071E0: D0CA0042 000383C5
	s_nop 0                                                    // 0000000071E8: BF800000
	v_cndmask_b32_e64 v193, v193, 0, s[66:67]                  // 0000000071EC: D10000C1 010901C1
	v_mul_f32_e64 v184, -s26, v193                             // 0000000071F4: D10500B8 2003821A
	v_mov_b32_e32 v185, v184                                   // 0000000071FC: 7F7203B8
	v_pk_fma_f32 v[52:53], v[52:53], s[26:27], v[184:185]      // 000000007200: D3B04034 1EE03534
	v_pk_fma_f32 v[54:55], v[54:55], s[26:27], v[184:185]      // 000000007208: D3B04036 1EE03536
	v_pk_fma_f32 v[56:57], v[56:57], s[26:27], v[184:185]      // 000000007210: D3B04038 1EE03538
	v_pk_fma_f32 v[58:59], v[58:59], s[26:27], v[184:185]      // 000000007218: D3B0403A 1EE0353A
	v_pk_fma_f32 v[60:61], v[60:61], s[26:27], v[184:185]      // 000000007220: D3B0403C 1EE0353C
	v_pk_fma_f32 v[62:63], v[62:63], s[26:27], v[184:185]      // 000000007228: D3B0403E 1EE0353E
	v_pk_fma_f32 v[64:65], v[64:65], s[26:27], v[184:185]      // 000000007230: D3B04040 1EE03540
	v_pk_fma_f32 v[66:67], v[66:67], s[26:27], v[184:185]      // 000000007238: D3B04042 1EE03542
	v_pk_fma_f32 v[68:69], v[68:69], s[26:27], v[184:185]      // 000000007240: D3B04044 1EE03544
	v_pk_fma_f32 v[70:71], v[70:71], s[26:27], v[184:185]      // 000000007248: D3B04046 1EE03546
	v_pk_fma_f32 v[72:73], v[72:73], s[26:27], v[184:185]      // 000000007250: D3B04048 1EE03548
	v_pk_fma_f32 v[74:75], v[74:75], s[26:27], v[184:185]      // 000000007258: D3B0404A 1EE0354A
	v_pk_fma_f32 v[76:77], v[76:77], s[26:27], v[184:185]      // 000000007260: D3B0404C 1EE0354C
	v_pk_fma_f32 v[78:79], v[78:79], s[26:27], v[184:185]      // 000000007268: D3B0404E 1EE0354E
	v_pk_fma_f32 v[80:81], v[80:81], s[26:27], v[184:185]      // 000000007270: D3B04050 1EE03550
	v_pk_fma_f32 v[82:83], v[82:83], s[26:27], v[184:185]      // 000000007278: D3B04052 1EE03552
	v_pk_fma_f32 v[84:85], v[84:85], s[26:27], v[184:185]      // 000000007280: D3B04054 1EE03554
	v_pk_fma_f32 v[86:87], v[86:87], s[26:27], v[184:185]      // 000000007288: D3B04056 1EE03556
	v_pk_fma_f32 v[88:89], v[88:89], s[26:27], v[184:185]      // 000000007290: D3B04058 1EE03558
	v_pk_fma_f32 v[90:91], v[90:91], s[26:27], v[184:185]      // 000000007298: D3B0405A 1EE0355A
	v_pk_fma_f32 v[92:93], v[92:93], s[26:27], v[184:185]      // 0000000072A0: D3B0405C 1EE0355C
	v_pk_fma_f32 v[94:95], v[94:95], s[26:27], v[184:185]      // 0000000072A8: D3B0405E 1EE0355E
	v_pk_fma_f32 v[96:97], v[96:97], s[26:27], v[184:185]      // 0000000072B0: D3B04060 1EE03560
	v_pk_fma_f32 v[98:99], v[98:99], s[26:27], v[184:185]      // 0000000072B8: D3B04062 1EE03562
	v_pk_fma_f32 v[100:101], v[100:101], s[26:27], v[184:185]  // 0000000072C0: D3B04064 1EE03564
	v_pk_fma_f32 v[102:103], v[102:103], s[26:27], v[184:185]  // 0000000072C8: D3B04066 1EE03566
	v_pk_fma_f32 v[104:105], v[104:105], s[26:27], v[184:185]  // 0000000072D0: D3B04068 1EE03568
	v_pk_fma_f32 v[106:107], v[106:107], s[26:27], v[184:185]  // 0000000072D8: D3B0406A 1EE0356A
	v_pk_fma_f32 v[108:109], v[108:109], s[26:27], v[184:185]  // 0000000072E0: D3B0406C 1EE0356C
	v_pk_fma_f32 v[110:111], v[110:111], s[26:27], v[184:185]  // 0000000072E8: D3B0406E 1EE0356E
	v_pk_fma_f32 v[112:113], v[112:113], s[26:27], v[184:185]  // 0000000072F0: D3B04070 1EE03570
	v_pk_fma_f32 v[114:115], v[114:115], s[26:27], v[184:185]  // 0000000072F8: D3B04072 1EE03572
	s_barrier                                                  // 000000007300: BF8A0000
	v_exp_f32_e32 v52, v52                                     // 000000007304: 7E684134
	v_exp_f32_e32 v53, v53                                     // 000000007308: 7E6A4135
	v_exp_f32_e32 v54, v54                                     // 00000000730C: 7E6C4136
	v_exp_f32_e32 v55, v55                                     // 000000007310: 7E6E4137
	v_exp_f32_e32 v56, v56                                     // 000000007314: 7E704138
	v_exp_f32_e32 v57, v57                                     // 000000007318: 7E724139
	v_exp_f32_e32 v58, v58                                     // 00000000731C: 7E74413A
	v_exp_f32_e32 v59, v59                                     // 000000007320: 7E76413B
	v_exp_f32_e32 v60, v60                                     // 000000007324: 7E78413C
	v_exp_f32_e32 v61, v61                                     // 000000007328: 7E7A413D
	v_exp_f32_e32 v62, v62                                     // 00000000732C: 7E7C413E
	v_exp_f32_e32 v63, v63                                     // 000000007330: 7E7E413F
	v_exp_f32_e32 v64, v64                                     // 000000007334: 7E804140
	v_exp_f32_e32 v65, v65                                     // 000000007338: 7E824141
	v_exp_f32_e32 v66, v66                                     // 00000000733C: 7E844142
	v_exp_f32_e32 v67, v67                                     // 000000007340: 7E864143
	v_exp_f32_e32 v68, v68                                     // 000000007344: 7E884144
	v_exp_f32_e32 v69, v69                                     // 000000007348: 7E8A4145
	v_exp_f32_e32 v70, v70                                     // 00000000734C: 7E8C4146
	v_exp_f32_e32 v71, v71                                     // 000000007350: 7E8E4147
	v_exp_f32_e32 v72, v72                                     // 000000007354: 7E904148
	v_exp_f32_e32 v73, v73                                     // 000000007358: 7E924149
	v_exp_f32_e32 v74, v74                                     // 00000000735C: 7E94414A
	v_exp_f32_e32 v75, v75                                     // 000000007360: 7E96414B
	v_exp_f32_e32 v76, v76                                     // 000000007364: 7E98414C
	v_exp_f32_e32 v77, v77                                     // 000000007368: 7E9A414D
	v_exp_f32_e32 v78, v78                                     // 00000000736C: 7E9C414E
	v_exp_f32_e32 v79, v79                                     // 000000007370: 7E9E414F
	v_exp_f32_e32 v80, v80                                     // 000000007374: 7EA04150
	v_exp_f32_e32 v81, v81                                     // 000000007378: 7EA24151
	v_exp_f32_e32 v82, v82                                     // 00000000737C: 7EA44152
	v_exp_f32_e32 v83, v83                                     // 000000007380: 7EA64153
	v_exp_f32_e32 v84, v84                                     // 000000007384: 7EA84154
	v_exp_f32_e32 v85, v85                                     // 000000007388: 7EAA4155
	v_exp_f32_e32 v86, v86                                     // 00000000738C: 7EAC4156
	v_exp_f32_e32 v87, v87                                     // 000000007390: 7EAE4157
	v_exp_f32_e32 v88, v88                                     // 000000007394: 7EB04158
	v_exp_f32_e32 v89, v89                                     // 000000007398: 7EB24159
	v_exp_f32_e32 v90, v90                                     // 00000000739C: 7EB4415A
	v_exp_f32_e32 v91, v91                                     // 0000000073A0: 7EB6415B
	v_exp_f32_e32 v92, v92                                     // 0000000073A4: 7EB8415C
	v_exp_f32_e32 v93, v93                                     // 0000000073A8: 7EBA415D
	v_exp_f32_e32 v94, v94                                     // 0000000073AC: 7EBC415E
	v_exp_f32_e32 v95, v95                                     // 0000000073B0: 7EBE415F
	v_exp_f32_e32 v96, v96                                     // 0000000073B4: 7EC04160
	v_exp_f32_e32 v97, v97                                     // 0000000073B8: 7EC24161
	v_exp_f32_e32 v98, v98                                     // 0000000073BC: 7EC44162
	v_exp_f32_e32 v99, v99                                     // 0000000073C0: 7EC64163
	v_exp_f32_e32 v100, v100                                   // 0000000073C4: 7EC84164
	v_exp_f32_e32 v101, v101                                   // 0000000073C8: 7ECA4165
	v_exp_f32_e32 v102, v102                                   // 0000000073CC: 7ECC4166
	v_exp_f32_e32 v103, v103                                   // 0000000073D0: 7ECE4167
	v_exp_f32_e32 v104, v104                                   // 0000000073D4: 7ED04168
	v_exp_f32_e32 v105, v105                                   // 0000000073D8: 7ED24169
	v_exp_f32_e32 v106, v106                                   // 0000000073DC: 7ED4416A
	v_exp_f32_e32 v107, v107                                   // 0000000073E0: 7ED6416B
	v_exp_f32_e32 v108, v108                                   // 0000000073E4: 7ED8416C
	v_exp_f32_e32 v109, v109                                   // 0000000073E8: 7EDA416D
	v_exp_f32_e32 v110, v110                                   // 0000000073EC: 7EDC416E
	v_exp_f32_e32 v111, v111                                   // 0000000073F0: 7EDE416F
	v_exp_f32_e32 v112, v112                                   // 0000000073F4: 7EE04170
	v_exp_f32_e32 v113, v113                                   // 0000000073F8: 7EE24171
	v_exp_f32_e32 v114, v114                                   // 0000000073FC: 7EE44172
	v_exp_f32_e32 v115, v115                                   // 000000007400: 7EE64173
	v_sub_f32_e32 v188, v192, v193                             // 000000007404: 057983C0
	v_cmp_eq_u32_e64 s[66:67], v197, v192                      // 000000007408: D0CA0042 000381C5
	s_nop 0                                                    // 000000007410: BF800000
	v_cndmask_b32_e64 v188, v188, 0, s[66:67]                  // 000000007414: D10000BC 010901BC
	v_mov_b32_e32 v192, v193                                   // 00000000741C: 7F8003C1
	v_mul_f32_e32 v188, s26, v188                              // 000000007420: 0B79781A
	v_exp_f32_e32 v188, v188                                   // 000000007424: 7F7841BC
	s_nop 0                                                    // 000000007428: BF800000
	v_mul_f32_e32 v190, v188, v190                             // 00000000742C: 0B7D7DBC
	v_add_f32_e32 v190, v52, v190                              // 000000007430: 037D7D34
	v_add_f32_e32 v190, v53, v190                              // 000000007434: 037D7D35
	v_add_f32_e32 v190, v54, v190                              // 000000007438: 037D7D36
	v_add_f32_e32 v190, v55, v190                              // 00000000743C: 037D7D37
	v_add_f32_e32 v190, v56, v190                              // 000000007440: 037D7D38
	v_add_f32_e32 v190, v57, v190                              // 000000007444: 037D7D39
	v_add_f32_e32 v190, v58, v190                              // 000000007448: 037D7D3A
	v_add_f32_e32 v190, v59, v190                              // 00000000744C: 037D7D3B
	v_add_f32_e32 v190, v60, v190                              // 000000007450: 037D7D3C
	v_add_f32_e32 v190, v61, v190                              // 000000007454: 037D7D3D
	v_add_f32_e32 v190, v62, v190                              // 000000007458: 037D7D3E
	v_add_f32_e32 v190, v63, v190                              // 00000000745C: 037D7D3F
	v_add_f32_e32 v190, v64, v190                              // 000000007460: 037D7D40
	v_add_f32_e32 v190, v65, v190                              // 000000007464: 037D7D41
	v_add_f32_e32 v190, v66, v190                              // 000000007468: 037D7D42
	v_add_f32_e32 v190, v67, v190                              // 00000000746C: 037D7D43
	v_add_f32_e32 v190, v68, v190                              // 000000007470: 037D7D44
	v_add_f32_e32 v190, v69, v190                              // 000000007474: 037D7D45
	v_add_f32_e32 v190, v70, v190                              // 000000007478: 037D7D46
	v_add_f32_e32 v190, v71, v190                              // 00000000747C: 037D7D47
	v_add_f32_e32 v190, v72, v190                              // 000000007480: 037D7D48
	v_add_f32_e32 v190, v73, v190                              // 000000007484: 037D7D49
	v_add_f32_e32 v190, v74, v190                              // 000000007488: 037D7D4A
	v_add_f32_e32 v190, v75, v190                              // 00000000748C: 037D7D4B
	v_add_f32_e32 v190, v76, v190                              // 000000007490: 037D7D4C
	v_add_f32_e32 v190, v77, v190                              // 000000007494: 037D7D4D
	v_add_f32_e32 v190, v78, v190                              // 000000007498: 037D7D4E
	v_add_f32_e32 v190, v79, v190                              // 00000000749C: 037D7D4F
	v_add_f32_e32 v190, v80, v190                              // 0000000074A0: 037D7D50
	v_add_f32_e32 v190, v81, v190                              // 0000000074A4: 037D7D51
	v_add_f32_e32 v190, v82, v190                              // 0000000074A8: 037D7D52
	v_add_f32_e32 v190, v83, v190                              // 0000000074AC: 037D7D53
	v_add_f32_e32 v190, v84, v190                              // 0000000074B0: 037D7D54
	v_add_f32_e32 v190, v85, v190                              // 0000000074B4: 037D7D55
	v_add_f32_e32 v190, v86, v190                              // 0000000074B8: 037D7D56
	v_add_f32_e32 v190, v87, v190                              // 0000000074BC: 037D7D57
	v_add_f32_e32 v190, v88, v190                              // 0000000074C0: 037D7D58
	v_add_f32_e32 v190, v89, v190                              // 0000000074C4: 037D7D59
	v_add_f32_e32 v190, v90, v190                              // 0000000074C8: 037D7D5A
	v_add_f32_e32 v190, v91, v190                              // 0000000074CC: 037D7D5B
	v_add_f32_e32 v190, v92, v190                              // 0000000074D0: 037D7D5C
	v_add_f32_e32 v190, v93, v190                              // 0000000074D4: 037D7D5D
	v_add_f32_e32 v190, v94, v190                              // 0000000074D8: 037D7D5E
	v_add_f32_e32 v190, v95, v190                              // 0000000074DC: 037D7D5F
	v_add_f32_e32 v190, v96, v190                              // 0000000074E0: 037D7D60
	v_add_f32_e32 v190, v97, v190                              // 0000000074E4: 037D7D61
	v_add_f32_e32 v190, v98, v190                              // 0000000074E8: 037D7D62
	v_add_f32_e32 v190, v99, v190                              // 0000000074EC: 037D7D63
	v_add_f32_e32 v190, v100, v190                             // 0000000074F0: 037D7D64
	v_add_f32_e32 v190, v101, v190                             // 0000000074F4: 037D7D65
	v_add_f32_e32 v190, v102, v190                             // 0000000074F8: 037D7D66
	v_add_f32_e32 v190, v103, v190                             // 0000000074FC: 037D7D67
	v_add_f32_e32 v190, v104, v190                             // 000000007500: 037D7D68
	v_add_f32_e32 v190, v105, v190                             // 000000007504: 037D7D69
	v_add_f32_e32 v190, v106, v190                             // 000000007508: 037D7D6A
	v_add_f32_e32 v190, v107, v190                             // 00000000750C: 037D7D6B
	v_add_f32_e32 v190, v108, v190                             // 000000007510: 037D7D6C
	v_add_f32_e32 v190, v109, v190                             // 000000007514: 037D7D6D
	v_add_f32_e32 v190, v110, v190                             // 000000007518: 037D7D6E
	v_add_f32_e32 v190, v111, v190                             // 00000000751C: 037D7D6F
	v_add_f32_e32 v190, v112, v190                             // 000000007520: 037D7D70
	v_add_f32_e32 v190, v113, v190                             // 000000007524: 037D7D71
	v_add_f32_e32 v190, v114, v190                             // 000000007528: 037D7D72
	v_add_f32_e32 v190, v115, v190                             // 00000000752C: 037D7D73
	v_mul_f32_e32 v116, v188, v116                             // 000000007530: 0AE8E9BC
	v_mul_f32_e32 v117, v188, v117                             // 000000007534: 0AEAEBBC
	v_mul_f32_e32 v118, v188, v118                             // 000000007538: 0AECEDBC
	v_mul_f32_e32 v119, v188, v119                             // 00000000753C: 0AEEEFBC
	v_mul_f32_e32 v120, v188, v120                             // 000000007540: 0AF0F1BC
	v_mul_f32_e32 v121, v188, v121                             // 000000007544: 0AF2F3BC
	v_mul_f32_e32 v122, v188, v122                             // 000000007548: 0AF4F5BC
	v_mul_f32_e32 v123, v188, v123                             // 00000000754C: 0AF6F7BC
	v_mul_f32_e32 v124, v188, v124                             // 000000007550: 0AF8F9BC
	v_mul_f32_e32 v125, v188, v125                             // 000000007554: 0AFAFBBC
	v_mul_f32_e32 v126, v188, v126                             // 000000007558: 0AFCFDBC
	v_mul_f32_e32 v127, v188, v127                             // 00000000755C: 0AFEFFBC
	v_mul_f32_e32 v128, v188, v128                             // 000000007560: 0B0101BC
	v_mul_f32_e32 v129, v188, v129                             // 000000007564: 0B0303BC
	v_mul_f32_e32 v130, v188, v130                             // 000000007568: 0B0505BC
	v_mul_f32_e32 v131, v188, v131                             // 00000000756C: 0B0707BC
	v_mul_f32_e32 v132, v188, v132                             // 000000007570: 0B0909BC
	v_mul_f32_e32 v133, v188, v133                             // 000000007574: 0B0B0BBC
	v_mul_f32_e32 v134, v188, v134                             // 000000007578: 0B0D0DBC
	v_mul_f32_e32 v135, v188, v135                             // 00000000757C: 0B0F0FBC
	v_mul_f32_e32 v136, v188, v136                             // 000000007580: 0B1111BC
	v_mul_f32_e32 v137, v188, v137                             // 000000007584: 0B1313BC
	v_mul_f32_e32 v138, v188, v138                             // 000000007588: 0B1515BC
	v_mul_f32_e32 v139, v188, v139                             // 00000000758C: 0B1717BC
	v_mul_f32_e32 v140, v188, v140                             // 000000007590: 0B1919BC
	v_mul_f32_e32 v141, v188, v141                             // 000000007594: 0B1B1BBC
	v_mul_f32_e32 v142, v188, v142                             // 000000007598: 0B1D1DBC
	v_mul_f32_e32 v143, v188, v143                             // 00000000759C: 0B1F1FBC
	v_mul_f32_e32 v144, v188, v144                             // 0000000075A0: 0B2121BC
	v_mul_f32_e32 v145, v188, v145                             // 0000000075A4: 0B2323BC
	v_mul_f32_e32 v146, v188, v146                             // 0000000075A8: 0B2525BC
	v_mul_f32_e32 v147, v188, v147                             // 0000000075AC: 0B2727BC
	v_mul_f32_e32 v148, v188, v148                             // 0000000075B0: 0B2929BC
	v_mul_f32_e32 v149, v188, v149                             // 0000000075B4: 0B2B2BBC
	v_mul_f32_e32 v150, v188, v150                             // 0000000075B8: 0B2D2DBC
	v_mul_f32_e32 v151, v188, v151                             // 0000000075BC: 0B2F2FBC
	v_mul_f32_e32 v152, v188, v152                             // 0000000075C0: 0B3131BC
	v_mul_f32_e32 v153, v188, v153                             // 0000000075C4: 0B3333BC
	v_mul_f32_e32 v154, v188, v154                             // 0000000075C8: 0B3535BC
	v_mul_f32_e32 v155, v188, v155                             // 0000000075CC: 0B3737BC
	v_mul_f32_e32 v156, v188, v156                             // 0000000075D0: 0B3939BC
	v_mul_f32_e32 v157, v188, v157                             // 0000000075D4: 0B3B3BBC
	v_mul_f32_e32 v158, v188, v158                             // 0000000075D8: 0B3D3DBC
	v_mul_f32_e32 v159, v188, v159                             // 0000000075DC: 0B3F3FBC
	v_mul_f32_e32 v160, v188, v160                             // 0000000075E0: 0B4141BC
	v_mul_f32_e32 v161, v188, v161                             // 0000000075E4: 0B4343BC
	v_mul_f32_e32 v162, v188, v162                             // 0000000075E8: 0B4545BC
	v_mul_f32_e32 v163, v188, v163                             // 0000000075EC: 0B4747BC
	v_mul_f32_e32 v164, v188, v164                             // 0000000075F0: 0B4949BC
	v_mul_f32_e32 v165, v188, v165                             // 0000000075F4: 0B4B4BBC
	v_mul_f32_e32 v166, v188, v166                             // 0000000075F8: 0B4D4DBC
	v_mul_f32_e32 v167, v188, v167                             // 0000000075FC: 0B4F4FBC
	v_mul_f32_e32 v168, v188, v168                             // 000000007600: 0B5151BC
	v_mul_f32_e32 v169, v188, v169                             // 000000007604: 0B5353BC
	v_mul_f32_e32 v170, v188, v170                             // 000000007608: 0B5555BC
	v_mul_f32_e32 v171, v188, v171                             // 00000000760C: 0B5757BC
	v_mul_f32_e32 v172, v188, v172                             // 000000007610: 0B5959BC
	v_mul_f32_e32 v173, v188, v173                             // 000000007614: 0B5B5BBC
	v_mul_f32_e32 v174, v188, v174                             // 000000007618: 0B5D5DBC
	v_mul_f32_e32 v175, v188, v175                             // 00000000761C: 0B5F5FBC
	v_mul_f32_e32 v176, v188, v176                             // 000000007620: 0B6161BC
	v_mul_f32_e32 v177, v188, v177                             // 000000007624: 0B6363BC
	v_mul_f32_e32 v178, v188, v178                             // 000000007628: 0B6565BC
	v_mul_f32_e32 v179, v188, v179                             // 00000000762C: 0B6767BC
	v_mov_b32_e32 v189, v188                                   // 000000007630: 7F7A03BC
	s_barrier                                                  // 000000007634: BF8A0000
	v_cvt_pk_fp8_f32 v52, v52, v53                             // 000000007638: D2A20034 00026B34
	v_cvt_pk_fp8_f32 v52, v54, v55 op_sel:[0,0,1]              // 000000007640: D2A24034 00026F36
	v_cvt_pk_fp8_f32 v53, v56, v57                             // 000000007648: D2A20035 00027338
	v_cvt_pk_fp8_f32 v53, v58, v59 op_sel:[0,0,1]              // 000000007650: D2A24035 0002773A
	v_cvt_pk_fp8_f32 v54, v60, v61                             // 000000007658: D2A20036 00027B3C
	v_cvt_pk_fp8_f32 v54, v62, v63 op_sel:[0,0,1]              // 000000007660: D2A24036 00027F3E
	v_cvt_pk_fp8_f32 v55, v64, v65                             // 000000007668: D2A20037 00028340
	v_cvt_pk_fp8_f32 v55, v66, v67 op_sel:[0,0,1]              // 000000007670: D2A24037 00028742
	v_cvt_pk_fp8_f32 v56, v68, v69                             // 000000007678: D2A20038 00028B44
	v_cvt_pk_fp8_f32 v56, v70, v71 op_sel:[0,0,1]              // 000000007680: D2A24038 00028F46
	v_cvt_pk_fp8_f32 v57, v72, v73                             // 000000007688: D2A20039 00029348
	v_cvt_pk_fp8_f32 v57, v74, v75 op_sel:[0,0,1]              // 000000007690: D2A24039 0002974A
	v_cvt_pk_fp8_f32 v58, v76, v77                             // 000000007698: D2A2003A 00029B4C
	v_cvt_pk_fp8_f32 v58, v78, v79 op_sel:[0,0,1]              // 0000000076A0: D2A2403A 00029F4E
	v_cvt_pk_fp8_f32 v59, v80, v81                             // 0000000076A8: D2A2003B 0002A350
	v_cvt_pk_fp8_f32 v59, v82, v83 op_sel:[0,0,1]              // 0000000076B0: D2A2403B 0002A752
	v_cvt_pk_fp8_f32 v60, v84, v85                             // 0000000076B8: D2A2003C 0002AB54
	v_cvt_pk_fp8_f32 v60, v86, v87 op_sel:[0,0,1]              // 0000000076C0: D2A2403C 0002AF56
	v_cvt_pk_fp8_f32 v61, v88, v89                             // 0000000076C8: D2A2003D 0002B358
	v_cvt_pk_fp8_f32 v61, v90, v91 op_sel:[0,0,1]              // 0000000076D0: D2A2403D 0002B75A
	v_cvt_pk_fp8_f32 v62, v92, v93                             // 0000000076D8: D2A2003E 0002BB5C
	v_cvt_pk_fp8_f32 v62, v94, v95 op_sel:[0,0,1]              // 0000000076E0: D2A2403E 0002BF5E
	v_cvt_pk_fp8_f32 v63, v96, v97                             // 0000000076E8: D2A2003F 0002C360
	v_cvt_pk_fp8_f32 v63, v98, v99 op_sel:[0,0,1]              // 0000000076F0: D2A2403F 0002C762
	v_cvt_pk_fp8_f32 v64, v100, v101                           // 0000000076F8: D2A20040 0002CB64
	v_cvt_pk_fp8_f32 v64, v102, v103 op_sel:[0,0,1]            // 000000007700: D2A24040 0002CF66
	v_cvt_pk_fp8_f32 v65, v104, v105                           // 000000007708: D2A20041 0002D368
	v_cvt_pk_fp8_f32 v65, v106, v107 op_sel:[0,0,1]            // 000000007710: D2A24041 0002D76A
	v_cvt_pk_fp8_f32 v66, v108, v109                           // 000000007718: D2A20042 0002DB6C
	v_cvt_pk_fp8_f32 v66, v110, v111 op_sel:[0,0,1]            // 000000007720: D2A24042 0002DF6E
	v_cvt_pk_fp8_f32 v67, v112, v113                           // 000000007728: D2A20043 0002E370
	v_cvt_pk_fp8_f32 v67, v114, v115 op_sel:[0,0,1]            // 000000007730: D2A24043 0002E772
	s_barrier                                                  // 000000007738: BF8A0000
	s_waitcnt vmcnt(0)                                         // 00000000773C: BF8C0F70
	s_waitcnt lgkmcnt(8)                                       // 000000007740: BF8CC87F
	s_setprio 1                                                // 000000007744: BF8F0001
	s_barrier                                                  // 000000007748: BF8A0000
	v_mfma_f32_32x32x64_f8f6f4 v[116:131], v[20:27], v[52:59], v[116:131]// 00000000774C: D3AE0074 05D26914
	ds_read_b64_tr_b8 v[36:37], v219 offset:32                 // 000000007754: D9C40020 240000DB
	ds_read_b64_tr_b8 v[38:39], v219 offset:288                // 00000000775C: D9C40120 260000DB
	ds_read_b64_tr_b8 v[40:41], v219 offset:544                // 000000007764: D9C40220 280000DB
	ds_read_b64_tr_b8 v[42:43], v219 offset:800                // 00000000776C: D9C40320 2A0000DB
	s_waitcnt lgkmcnt(8)                                       // 000000007774: BF8CC87F
	v_mfma_f32_32x32x64_f8f6f4 v[116:131], v[28:35], v[60:67], v[116:131]// 000000007778: D3AE0074 05D2791C
	ds_read_b64_tr_b8 v[44:45], v219 offset:8352               // 000000007780: D9C420A0 2C0000DB
	ds_read_b64_tr_b8 v[46:47], v219 offset:8608               // 000000007788: D9C421A0 2E0000DB
	ds_read_b64_tr_b8 v[48:49], v219 offset:8864               // 000000007790: D9C422A0 300000DB
	ds_read_b64_tr_b8 v[50:51], v219 offset:9120               // 000000007798: D9C423A0 320000DB
	s_waitcnt lgkmcnt(8)                                       // 0000000077A0: BF8CC87F
	v_mfma_f32_32x32x64_f8f6f4 v[132:147], v[36:43], v[52:59], v[132:147]// 0000000077A4: D3AE0084 06126924
	ds_read_b64_tr_b8 v[20:21], v219 offset:64                 // 0000000077AC: D9C40040 140000DB
	ds_read_b64_tr_b8 v[22:23], v219 offset:320                // 0000000077B4: D9C40140 160000DB
	ds_read_b64_tr_b8 v[24:25], v219 offset:576                // 0000000077BC: D9C40240 180000DB
	ds_read_b64_tr_b8 v[26:27], v219 offset:832                // 0000000077C4: D9C40340 1A0000DB
	s_waitcnt lgkmcnt(8)                                       // 0000000077CC: BF8CC87F
	v_mfma_f32_32x32x64_f8f6f4 v[132:147], v[44:51], v[60:67], v[132:147]// 0000000077D0: D3AE0084 0612792C
	ds_read_b64_tr_b8 v[28:29], v219 offset:8384               // 0000000077D8: D9C420C0 1C0000DB
	ds_read_b64_tr_b8 v[30:31], v219 offset:8640               // 0000000077E0: D9C421C0 1E0000DB
	ds_read_b64_tr_b8 v[32:33], v219 offset:8896               // 0000000077E8: D9C422C0 200000DB
	ds_read_b64_tr_b8 v[34:35], v219 offset:9152               // 0000000077F0: D9C423C0 220000DB
	s_waitcnt lgkmcnt(8)                                       // 0000000077F8: BF8CC87F
	v_mfma_f32_32x32x64_f8f6f4 v[148:163], v[20:27], v[52:59], v[148:163]// 0000000077FC: D3AE0094 06526914
	ds_read_b64_tr_b8 v[36:37], v219 offset:96                 // 000000007804: D9C40060 240000DB
	ds_read_b64_tr_b8 v[38:39], v219 offset:352                // 00000000780C: D9C40160 260000DB
	ds_read_b64_tr_b8 v[40:41], v219 offset:608                // 000000007814: D9C40260 280000DB
	ds_read_b64_tr_b8 v[42:43], v219 offset:864                // 00000000781C: D9C40360 2A0000DB
	s_waitcnt lgkmcnt(8)                                       // 000000007824: BF8CC87F
	v_mfma_f32_32x32x64_f8f6f4 v[148:163], v[28:35], v[60:67], v[148:163]// 000000007828: D3AE0094 0652791C
	ds_read_b64_tr_b8 v[44:45], v219 offset:8416               // 000000007830: D9C420E0 2C0000DB
	ds_read_b64_tr_b8 v[46:47], v219 offset:8672               // 000000007838: D9C421E0 2E0000DB
	ds_read_b64_tr_b8 v[48:49], v219 offset:8928               // 000000007840: D9C422E0 300000DB
	ds_read_b64_tr_b8 v[50:51], v219 offset:9184               // 000000007848: D9C423E0 320000DB
	s_waitcnt lgkmcnt(8)                                       // 000000007850: BF8CC87F
	v_mfma_f32_32x32x64_f8f6f4 v[164:179], v[36:43], v[52:59], v[164:179]// 000000007854: D3AE00A4 06926924
	ds_read_b128 v[20:23], v218 offset:16640                   // 00000000785C: D9FE4100 140000DA
	ds_read_b128 v[24:27], v218 offset:16672                   // 000000007864: D9FE4120 180000DA
	s_waitcnt lgkmcnt(6)                                       // 00000000786C: BF8CC67F
	v_mfma_f32_32x32x64_f8f6f4 v[164:179], v[44:51], v[60:67], v[164:179]// 000000007870: D3AE00A4 0692792C
	ds_read_b128 v[28:31], v218 offset:20800                   // 000000007878: D9FE5140 1C0000DA
	ds_read_b128 v[32:35], v218 offset:20832                   // 000000007880: D9FE5160 200000DA
	s_addk_i32 s68, 0x80                                       // 000000007888: B7440080

000000000000788c <label_3C8C>:
	s_cmp_lt_i32 s68, s43                                      // 00000000788C: BF042B44
	s_cbranch_scc0 label_65F8                                  // 000000007890: BF840A59
	s_waitcnt lgkmcnt(2)                                       // 000000007894: BF8CC27F
	v_mfma_f32_32x32x64_f8f6f4 v[52:67], v[20:27], v[4:11], 0  // 000000007898: D3AE0034 02020914
	v_mul_i32_i24_dpp v184, v180, v222 quad_perm:[0,0,0,0] row_mask:0xf bank_mask:0xf// 0000000078A0: 0D71BCFA FF0000B4
	v_mul_i32_i24_dpp v185, v180, v222 quad_perm:[1,1,1,1] row_mask:0xf bank_mask:0xf// 0000000078A8: 0D73BCFA FF0055B4
	v_add_u32_e32 v211, v210, v184                             // 0000000078B0: 69A771D2
	v_add_u32_e32 v212, v210, v185                             // 0000000078B4: 69A973D2
	ds_read_b128 v[36:39], v218 offset:17152                   // 0000000078B8: D9FE4300 240000DA
	ds_read_b128 v[40:43], v218 offset:17184                   // 0000000078C0: D9FE4320 280000DA
	s_waitcnt lgkmcnt(2)                                       // 0000000078C8: BF8CC27F
	v_mfma_f32_32x32x64_f8f6f4 v[52:67], v[28:35], v[12:19], v[52:67]// 0000000078CC: D3AE0034 04D2191C
	s_add_u32 m0, s71, 0                                       // 0000000078D4: 807C8047
	buffer_load_dwordx4 v211, s[12:15], 0 offen lds            // 0000000078D8: E05D1000 800300D3
	ds_read_b128 v[44:47], v218 offset:21312                   // 0000000078E0: D9FE5340 2C0000DA
	ds_read_b128 v[48:51], v218 offset:21344                   // 0000000078E8: D9FE5360 300000DA
	s_waitcnt lgkmcnt(2)                                       // 0000000078F0: BF8CC27F
	v_mfma_f32_32x32x64_f8f6f4 v[68:83], v[36:43], v[4:11], 0  // 0000000078F4: D3AE0044 02020924
	s_add_u32 m0, s71, 0x410                                   // 0000000078FC: 807CFF47 00000410
	buffer_load_dwordx4 v212, s[12:15], 0 offen lds            // 000000007904: E05D1000 800300D4
	ds_read_b128 v[20:23], v218 offset:24960                   // 00000000790C: D9FE6180 140000DA
	ds_read_b128 v[24:27], v218 offset:24992                   // 000000007914: D9FE61A0 180000DA
	s_waitcnt lgkmcnt(2)                                       // 00000000791C: BF8CC27F
	v_mfma_f32_32x32x64_f8f6f4 v[68:83], v[44:51], v[12:19], v[68:83]// 000000007920: D3AE0044 0512192C
	s_add_u32 m0, s71, 0x1000                                  // 000000007928: 807CFF47 00001000
	buffer_load_dwordx4 v211, s[12:15], 0 offen offset:64 lds  // 000000007930: E05D1040 800300D3
	ds_read_b128 v[28:31], v218 offset:29120                   // 000000007938: D9FE71C0 1C0000DA
	ds_read_b128 v[32:35], v218 offset:29152                   // 000000007940: D9FE71E0 200000DA
	s_waitcnt lgkmcnt(2)                                       // 000000007948: BF8CC27F
	v_mfma_f32_32x32x64_f8f6f4 v[84:99], v[20:27], v[4:11], 0  // 00000000794C: D3AE0054 02020914
	s_add_u32 m0, s71, 0x1410                                  // 000000007954: 807CFF47 00001410
	buffer_load_dwordx4 v212, s[12:15], 0 offen offset:64 lds  // 00000000795C: E05D1040 800300D4
	ds_read_b128 v[36:39], v218 offset:25472                   // 000000007964: D9FE6380 240000DA
	ds_read_b128 v[40:43], v218 offset:25504                   // 00000000796C: D9FE63A0 280000DA
	s_waitcnt lgkmcnt(2)                                       // 000000007974: BF8CC27F
	v_mfma_f32_32x32x64_f8f6f4 v[84:99], v[28:35], v[12:19], v[84:99]// 000000007978: D3AE0054 0552191C
	ds_read_b128 v[44:47], v218 offset:29632                   // 000000007980: D9FE73C0 2C0000DA
	ds_read_b128 v[48:51], v218 offset:29664                   // 000000007988: D9FE73E0 300000DA
	s_waitcnt lgkmcnt(2)                                       // 000000007990: BF8CC27F
	v_mfma_f32_32x32x64_f8f6f4 v[100:115], v[36:43], v[4:11], 0// 000000007994: D3AE0064 02020924
	s_barrier                                                  // 00000000799C: BF8A0000
	ds_read_b64_tr_b8 v[20:21], v219 offset:16640              // 0000000079A0: D9C44100 140000DB
	ds_read_b64_tr_b8 v[22:23], v219 offset:16896              // 0000000079A8: D9C44200 160000DB
	ds_read_b64_tr_b8 v[24:25], v219 offset:17152              // 0000000079B0: D9C44300 180000DB
	ds_read_b64_tr_b8 v[26:27], v219 offset:17408              // 0000000079B8: D9C44400 1A0000DB
	s_waitcnt lgkmcnt(4)                                       // 0000000079C0: BF8CC47F
	v_mfma_f32_32x32x64_f8f6f4 v[100:115], v[44:51], v[12:19], v[100:115]// 0000000079C4: D3AE0064 0592192C
	ds_read_b64_tr_b8 v[28:29], v219 offset:24960              // 0000000079CC: D9C46180 1C0000DB
	ds_read_b64_tr_b8 v[30:31], v219 offset:25216              // 0000000079D4: D9C46280 1E0000DB
	ds_read_b64_tr_b8 v[32:33], v219 offset:25472              // 0000000079DC: D9C46380 200000DB
	ds_read_b64_tr_b8 v[34:35], v219 offset:25728              // 0000000079E4: D9C46480 220000DB
	s_nop 5                                                    // 0000000079EC: BF800005
	s_barrier                                                  // 0000000079F0: BF8A0000
	s_setprio 0                                                // 0000000079F4: BF8F0000
	s_barrier                                                  // 0000000079F8: BF8A0000
	v_add_u32_e32 v184, s68, v195                              // 0000000079FC: 69718644
	v_add_u32_e32 v185, 0, v184                                // 000000007A00: 69737080
	v_cmp_lt_i32_e32 vcc, v185, v194                           // 000000007A04: 7D8385B9
	s_nop 0                                                    // 000000007A08: BF800000
	v_cndmask_b32_e32 v52, v197, v52, vcc                      // 000000007A0C: 006869C5
	v_add_u32_e32 v185, 1, v184                                // 000000007A10: 69737081
	v_cmp_lt_i32_e32 vcc, v185, v194                           // 000000007A14: 7D8385B9
	s_nop 0                                                    // 000000007A18: BF800000
	v_cndmask_b32_e32 v53, v197, v53, vcc                      // 000000007A1C: 006A6BC5
	v_add_u32_e32 v185, 2, v184                                // 000000007A20: 69737082
	v_cmp_lt_i32_e32 vcc, v185, v194                           // 000000007A24: 7D8385B9
	s_nop 0                                                    // 000000007A28: BF800000
	v_cndmask_b32_e32 v54, v197, v54, vcc                      // 000000007A2C: 006C6DC5
	v_add_u32_e32 v185, 3, v184                                // 000000007A30: 69737083
	v_cmp_lt_i32_e32 vcc, v185, v194                           // 000000007A34: 7D8385B9
	s_nop 0                                                    // 000000007A38: BF800000
	v_cndmask_b32_e32 v55, v197, v55, vcc                      // 000000007A3C: 006E6FC5
	v_add_u32_e32 v185, 8, v184                                // 000000007A40: 69737088
	v_cmp_lt_i32_e32 vcc, v185, v194                           // 000000007A44: 7D8385B9
	s_nop 0                                                    // 000000007A48: BF800000
	v_cndmask_b32_e32 v56, v197, v56, vcc                      // 000000007A4C: 007071C5
	v_add_u32_e32 v185, 9, v184                                // 000000007A50: 69737089
	v_cmp_lt_i32_e32 vcc, v185, v194                           // 000000007A54: 7D8385B9
	s_nop 0                                                    // 000000007A58: BF800000
	v_cndmask_b32_e32 v57, v197, v57, vcc                      // 000000007A5C: 007273C5
	v_add_u32_e32 v185, 10, v184                               // 000000007A60: 6973708A
	v_cmp_lt_i32_e32 vcc, v185, v194                           // 000000007A64: 7D8385B9
	s_nop 0                                                    // 000000007A68: BF800000
	v_cndmask_b32_e32 v58, v197, v58, vcc                      // 000000007A6C: 007475C5
	v_add_u32_e32 v185, 11, v184                               // 000000007A70: 6973708B
	v_cmp_lt_i32_e32 vcc, v185, v194                           // 000000007A74: 7D8385B9
	s_nop 0                                                    // 000000007A78: BF800000
	v_cndmask_b32_e32 v59, v197, v59, vcc                      // 000000007A7C: 007677C5
	v_add_u32_e32 v185, 16, v184                               // 000000007A80: 69737090
	v_cmp_lt_i32_e32 vcc, v185, v194                           // 000000007A84: 7D8385B9
	s_nop 0                                                    // 000000007A88: BF800000
	v_cndmask_b32_e32 v60, v197, v60, vcc                      // 000000007A8C: 007879C5
	v_add_u32_e32 v185, 17, v184                               // 000000007A90: 69737091
	v_cmp_lt_i32_e32 vcc, v185, v194                           // 000000007A94: 7D8385B9
	s_nop 0                                                    // 000000007A98: BF800000
	v_cndmask_b32_e32 v61, v197, v61, vcc                      // 000000007A9C: 007A7BC5
	v_add_u32_e32 v185, 18, v184                               // 000000007AA0: 69737092
	v_cmp_lt_i32_e32 vcc, v185, v194                           // 000000007AA4: 7D8385B9
	s_nop 0                                                    // 000000007AA8: BF800000
	v_cndmask_b32_e32 v62, v197, v62, vcc                      // 000000007AAC: 007C7DC5
	v_add_u32_e32 v185, 19, v184                               // 000000007AB0: 69737093
	v_cmp_lt_i32_e32 vcc, v185, v194                           // 000000007AB4: 7D8385B9
	s_nop 0                                                    // 000000007AB8: BF800000
	v_cndmask_b32_e32 v63, v197, v63, vcc                      // 000000007ABC: 007E7FC5
	v_add_u32_e32 v185, 24, v184                               // 000000007AC0: 69737098
	v_cmp_lt_i32_e32 vcc, v185, v194                           // 000000007AC4: 7D8385B9
	s_nop 0                                                    // 000000007AC8: BF800000
	v_cndmask_b32_e32 v64, v197, v64, vcc                      // 000000007ACC: 008081C5
	v_add_u32_e32 v185, 25, v184                               // 000000007AD0: 69737099
	v_cmp_lt_i32_e32 vcc, v185, v194                           // 000000007AD4: 7D8385B9
	s_nop 0                                                    // 000000007AD8: BF800000
	v_cndmask_b32_e32 v65, v197, v65, vcc                      // 000000007ADC: 008283C5
	v_add_u32_e32 v185, 26, v184                               // 000000007AE0: 6973709A
	v_cmp_lt_i32_e32 vcc, v185, v194                           // 000000007AE4: 7D8385B9
	s_nop 0                                                    // 000000007AE8: BF800000
	v_cndmask_b32_e32 v66, v197, v66, vcc                      // 000000007AEC: 008485C5
	v_add_u32_e32 v185, 27, v184                               // 000000007AF0: 6973709B
	v_cmp_lt_i32_e32 vcc, v185, v194                           // 000000007AF4: 7D8385B9
	s_nop 0                                                    // 000000007AF8: BF800000
	v_cndmask_b32_e32 v67, v197, v67, vcc                      // 000000007AFC: 008687C5
	v_add_u32_e32 v185, 32, v184                               // 000000007B00: 697370A0
	v_cmp_lt_i32_e32 vcc, v185, v194                           // 000000007B04: 7D8385B9
	s_nop 0                                                    // 000000007B08: BF800000
	v_cndmask_b32_e32 v68, v197, v68, vcc                      // 000000007B0C: 008889C5
	v_add_u32_e32 v185, 33, v184                               // 000000007B10: 697370A1
	v_cmp_lt_i32_e32 vcc, v185, v194                           // 000000007B14: 7D8385B9
	s_nop 0                                                    // 000000007B18: BF800000
	v_cndmask_b32_e32 v69, v197, v69, vcc                      // 000000007B1C: 008A8BC5
	v_add_u32_e32 v185, 34, v184                               // 000000007B20: 697370A2
	v_cmp_lt_i32_e32 vcc, v185, v194                           // 000000007B24: 7D8385B9
	s_nop 0                                                    // 000000007B28: BF800000
	v_cndmask_b32_e32 v70, v197, v70, vcc                      // 000000007B2C: 008C8DC5
	v_add_u32_e32 v185, 35, v184                               // 000000007B30: 697370A3
	v_cmp_lt_i32_e32 vcc, v185, v194                           // 000000007B34: 7D8385B9
	s_nop 0                                                    // 000000007B38: BF800000
	v_cndmask_b32_e32 v71, v197, v71, vcc                      // 000000007B3C: 008E8FC5
	v_add_u32_e32 v185, 40, v184                               // 000000007B40: 697370A8
	v_cmp_lt_i32_e32 vcc, v185, v194                           // 000000007B44: 7D8385B9
	s_nop 0                                                    // 000000007B48: BF800000
	v_cndmask_b32_e32 v72, v197, v72, vcc                      // 000000007B4C: 009091C5
	v_add_u32_e32 v185, 41, v184                               // 000000007B50: 697370A9
	v_cmp_lt_i32_e32 vcc, v185, v194                           // 000000007B54: 7D8385B9
	s_nop 0                                                    // 000000007B58: BF800000
	v_cndmask_b32_e32 v73, v197, v73, vcc                      // 000000007B5C: 009293C5
	v_add_u32_e32 v185, 42, v184                               // 000000007B60: 697370AA
	v_cmp_lt_i32_e32 vcc, v185, v194                           // 000000007B64: 7D8385B9
	s_nop 0                                                    // 000000007B68: BF800000
	v_cndmask_b32_e32 v74, v197, v74, vcc                      // 000000007B6C: 009495C5
	v_add_u32_e32 v185, 43, v184                               // 000000007B70: 697370AB
	v_cmp_lt_i32_e32 vcc, v185, v194                           // 000000007B74: 7D8385B9
	s_nop 0                                                    // 000000007B78: BF800000
	v_cndmask_b32_e32 v75, v197, v75, vcc                      // 000000007B7C: 009697C5
	v_add_u32_e32 v185, 48, v184                               // 000000007B80: 697370B0
	v_cmp_lt_i32_e32 vcc, v185, v194                           // 000000007B84: 7D8385B9
	s_nop 0                                                    // 000000007B88: BF800000
	v_cndmask_b32_e32 v76, v197, v76, vcc                      // 000000007B8C: 009899C5
	v_add_u32_e32 v185, 49, v184                               // 000000007B90: 697370B1
	v_cmp_lt_i32_e32 vcc, v185, v194                           // 000000007B94: 7D8385B9
	s_nop 0                                                    // 000000007B98: BF800000
	v_cndmask_b32_e32 v77, v197, v77, vcc                      // 000000007B9C: 009A9BC5
	v_add_u32_e32 v185, 50, v184                               // 000000007BA0: 697370B2
	v_cmp_lt_i32_e32 vcc, v185, v194                           // 000000007BA4: 7D8385B9
	s_nop 0                                                    // 000000007BA8: BF800000
	v_cndmask_b32_e32 v78, v197, v78, vcc                      // 000000007BAC: 009C9DC5
	v_add_u32_e32 v185, 51, v184                               // 000000007BB0: 697370B3
	v_cmp_lt_i32_e32 vcc, v185, v194                           // 000000007BB4: 7D8385B9
	s_nop 0                                                    // 000000007BB8: BF800000
	v_cndmask_b32_e32 v79, v197, v79, vcc                      // 000000007BBC: 009E9FC5
	v_add_u32_e32 v185, 56, v184                               // 000000007BC0: 697370B8
	v_cmp_lt_i32_e32 vcc, v185, v194                           // 000000007BC4: 7D8385B9
	s_nop 0                                                    // 000000007BC8: BF800000
	v_cndmask_b32_e32 v80, v197, v80, vcc                      // 000000007BCC: 00A0A1C5
	v_add_u32_e32 v185, 57, v184                               // 000000007BD0: 697370B9
	v_cmp_lt_i32_e32 vcc, v185, v194                           // 000000007BD4: 7D8385B9
	s_nop 0                                                    // 000000007BD8: BF800000
	v_cndmask_b32_e32 v81, v197, v81, vcc                      // 000000007BDC: 00A2A3C5
	v_add_u32_e32 v185, 58, v184                               // 000000007BE0: 697370BA
	v_cmp_lt_i32_e32 vcc, v185, v194                           // 000000007BE4: 7D8385B9
	s_nop 0                                                    // 000000007BE8: BF800000
	v_cndmask_b32_e32 v82, v197, v82, vcc                      // 000000007BEC: 00A4A5C5
	v_add_u32_e32 v185, 59, v184                               // 000000007BF0: 697370BB
	v_cmp_lt_i32_e32 vcc, v185, v194                           // 000000007BF4: 7D8385B9
	s_nop 0                                                    // 000000007BF8: BF800000
	v_cndmask_b32_e32 v83, v197, v83, vcc                      // 000000007BFC: 00A6A7C5
	v_add_u32_e32 v185, 64, v184                               // 000000007C00: 697370C0
	v_cmp_lt_i32_e32 vcc, v185, v194                           // 000000007C04: 7D8385B9
	s_nop 0                                                    // 000000007C08: BF800000
	v_cndmask_b32_e32 v84, v197, v84, vcc                      // 000000007C0C: 00A8A9C5
	v_add_u32_e32 v185, 0x41, v184                             // 000000007C10: 697370FF 00000041
	v_cmp_lt_i32_e32 vcc, v185, v194                           // 000000007C18: 7D8385B9
	s_nop 0                                                    // 000000007C1C: BF800000
	v_cndmask_b32_e32 v85, v197, v85, vcc                      // 000000007C20: 00AAABC5
	v_add_u32_e32 v185, 0x42, v184                             // 000000007C24: 697370FF 00000042
	v_cmp_lt_i32_e32 vcc, v185, v194                           // 000000007C2C: 7D8385B9
	s_nop 0                                                    // 000000007C30: BF800000
	v_cndmask_b32_e32 v86, v197, v86, vcc                      // 000000007C34: 00ACADC5
	v_add_u32_e32 v185, 0x43, v184                             // 000000007C38: 697370FF 00000043
	v_cmp_lt_i32_e32 vcc, v185, v194                           // 000000007C40: 7D8385B9
	s_nop 0                                                    // 000000007C44: BF800000
	v_cndmask_b32_e32 v87, v197, v87, vcc                      // 000000007C48: 00AEAFC5
	v_add_u32_e32 v185, 0x48, v184                             // 000000007C4C: 697370FF 00000048
	v_cmp_lt_i32_e32 vcc, v185, v194                           // 000000007C54: 7D8385B9
	s_nop 0                                                    // 000000007C58: BF800000
	v_cndmask_b32_e32 v88, v197, v88, vcc                      // 000000007C5C: 00B0B1C5
	v_add_u32_e32 v185, 0x49, v184                             // 000000007C60: 697370FF 00000049
	v_cmp_lt_i32_e32 vcc, v185, v194                           // 000000007C68: 7D8385B9
	s_nop 0                                                    // 000000007C6C: BF800000
	v_cndmask_b32_e32 v89, v197, v89, vcc                      // 000000007C70: 00B2B3C5
	v_add_u32_e32 v185, 0x4a, v184                             // 000000007C74: 697370FF 0000004A
	v_cmp_lt_i32_e32 vcc, v185, v194                           // 000000007C7C: 7D8385B9
	s_nop 0                                                    // 000000007C80: BF800000
	v_cndmask_b32_e32 v90, v197, v90, vcc                      // 000000007C84: 00B4B5C5
	v_add_u32_e32 v185, 0x4b, v184                             // 000000007C88: 697370FF 0000004B
	v_cmp_lt_i32_e32 vcc, v185, v194                           // 000000007C90: 7D8385B9
	s_nop 0                                                    // 000000007C94: BF800000
	v_cndmask_b32_e32 v91, v197, v91, vcc                      // 000000007C98: 00B6B7C5
	v_add_u32_e32 v185, 0x50, v184                             // 000000007C9C: 697370FF 00000050
	v_cmp_lt_i32_e32 vcc, v185, v194                           // 000000007CA4: 7D8385B9
	s_nop 0                                                    // 000000007CA8: BF800000
	v_cndmask_b32_e32 v92, v197, v92, vcc                      // 000000007CAC: 00B8B9C5
	v_add_u32_e32 v185, 0x51, v184                             // 000000007CB0: 697370FF 00000051
	v_cmp_lt_i32_e32 vcc, v185, v194                           // 000000007CB8: 7D8385B9
	s_nop 0                                                    // 000000007CBC: BF800000
	v_cndmask_b32_e32 v93, v197, v93, vcc                      // 000000007CC0: 00BABBC5
	v_add_u32_e32 v185, 0x52, v184                             // 000000007CC4: 697370FF 00000052
	v_cmp_lt_i32_e32 vcc, v185, v194                           // 000000007CCC: 7D8385B9
	s_nop 0                                                    // 000000007CD0: BF800000
	v_cndmask_b32_e32 v94, v197, v94, vcc                      // 000000007CD4: 00BCBDC5
	v_add_u32_e32 v185, 0x53, v184                             // 000000007CD8: 697370FF 00000053
	v_cmp_lt_i32_e32 vcc, v185, v194                           // 000000007CE0: 7D8385B9
	s_nop 0                                                    // 000000007CE4: BF800000
	v_cndmask_b32_e32 v95, v197, v95, vcc                      // 000000007CE8: 00BEBFC5
	v_add_u32_e32 v185, 0x58, v184                             // 000000007CEC: 697370FF 00000058
	v_cmp_lt_i32_e32 vcc, v185, v194                           // 000000007CF4: 7D8385B9
	s_nop 0                                                    // 000000007CF8: BF800000
	v_cndmask_b32_e32 v96, v197, v96, vcc                      // 000000007CFC: 00C0C1C5
	v_add_u32_e32 v185, 0x59, v184                             // 000000007D00: 697370FF 00000059
	v_cmp_lt_i32_e32 vcc, v185, v194                           // 000000007D08: 7D8385B9
	s_nop 0                                                    // 000000007D0C: BF800000
	v_cndmask_b32_e32 v97, v197, v97, vcc                      // 000000007D10: 00C2C3C5
	v_add_u32_e32 v185, 0x5a, v184                             // 000000007D14: 697370FF 0000005A
	v_cmp_lt_i32_e32 vcc, v185, v194                           // 000000007D1C: 7D8385B9
	s_nop 0                                                    // 000000007D20: BF800000
	v_cndmask_b32_e32 v98, v197, v98, vcc                      // 000000007D24: 00C4C5C5
	v_add_u32_e32 v185, 0x5b, v184                             // 000000007D28: 697370FF 0000005B
	v_cmp_lt_i32_e32 vcc, v185, v194                           // 000000007D30: 7D8385B9
	s_nop 0                                                    // 000000007D34: BF800000
	v_cndmask_b32_e32 v99, v197, v99, vcc                      // 000000007D38: 00C6C7C5
	v_add_u32_e32 v185, 0x60, v184                             // 000000007D3C: 697370FF 00000060
	v_cmp_lt_i32_e32 vcc, v185, v194                           // 000000007D44: 7D8385B9
	s_nop 0                                                    // 000000007D48: BF800000
	v_cndmask_b32_e32 v100, v197, v100, vcc                    // 000000007D4C: 00C8C9C5
	v_add_u32_e32 v185, 0x61, v184                             // 000000007D50: 697370FF 00000061
	v_cmp_lt_i32_e32 vcc, v185, v194                           // 000000007D58: 7D8385B9
	s_nop 0                                                    // 000000007D5C: BF800000
	v_cndmask_b32_e32 v101, v197, v101, vcc                    // 000000007D60: 00CACBC5
	v_add_u32_e32 v185, 0x62, v184                             // 000000007D64: 697370FF 00000062
	v_cmp_lt_i32_e32 vcc, v185, v194                           // 000000007D6C: 7D8385B9
	s_nop 0                                                    // 000000007D70: BF800000
	v_cndmask_b32_e32 v102, v197, v102, vcc                    // 000000007D74: 00CCCDC5
	v_add_u32_e32 v185, 0x63, v184                             // 000000007D78: 697370FF 00000063
	v_cmp_lt_i32_e32 vcc, v185, v194                           // 000000007D80: 7D8385B9
	s_nop 0                                                    // 000000007D84: BF800000
	v_cndmask_b32_e32 v103, v197, v103, vcc                    // 000000007D88: 00CECFC5
	v_add_u32_e32 v185, 0x68, v184                             // 000000007D8C: 697370FF 00000068
	v_cmp_lt_i32_e32 vcc, v185, v194                           // 000000007D94: 7D8385B9
	s_nop 0                                                    // 000000007D98: BF800000
	v_cndmask_b32_e32 v104, v197, v104, vcc                    // 000000007D9C: 00D0D1C5
	v_add_u32_e32 v185, 0x69, v184                             // 000000007DA0: 697370FF 00000069
	v_cmp_lt_i32_e32 vcc, v185, v194                           // 000000007DA8: 7D8385B9
	s_nop 0                                                    // 000000007DAC: BF800000
	v_cndmask_b32_e32 v105, v197, v105, vcc                    // 000000007DB0: 00D2D3C5
	v_add_u32_e32 v185, 0x6a, v184                             // 000000007DB4: 697370FF 0000006A
	v_cmp_lt_i32_e32 vcc, v185, v194                           // 000000007DBC: 7D8385B9
	s_nop 0                                                    // 000000007DC0: BF800000
	v_cndmask_b32_e32 v106, v197, v106, vcc                    // 000000007DC4: 00D4D5C5
	v_add_u32_e32 v185, 0x6b, v184                             // 000000007DC8: 697370FF 0000006B
	v_cmp_lt_i32_e32 vcc, v185, v194                           // 000000007DD0: 7D8385B9
	s_nop 0                                                    // 000000007DD4: BF800000
	v_cndmask_b32_e32 v107, v197, v107, vcc                    // 000000007DD8: 00D6D7C5
	v_add_u32_e32 v185, 0x70, v184                             // 000000007DDC: 697370FF 00000070
	v_cmp_lt_i32_e32 vcc, v185, v194                           // 000000007DE4: 7D8385B9
	s_nop 0                                                    // 000000007DE8: BF800000
	v_cndmask_b32_e32 v108, v197, v108, vcc                    // 000000007DEC: 00D8D9C5
	v_add_u32_e32 v185, 0x71, v184                             // 000000007DF0: 697370FF 00000071
	v_cmp_lt_i32_e32 vcc, v185, v194                           // 000000007DF8: 7D8385B9
	s_nop 0                                                    // 000000007DFC: BF800000
	v_cndmask_b32_e32 v109, v197, v109, vcc                    // 000000007E00: 00DADBC5
	v_add_u32_e32 v185, 0x72, v184                             // 000000007E04: 697370FF 00000072
	v_cmp_lt_i32_e32 vcc, v185, v194                           // 000000007E0C: 7D8385B9
	s_nop 0                                                    // 000000007E10: BF800000
	v_cndmask_b32_e32 v110, v197, v110, vcc                    // 000000007E14: 00DCDDC5
	v_add_u32_e32 v185, 0x73, v184                             // 000000007E18: 697370FF 00000073
	v_cmp_lt_i32_e32 vcc, v185, v194                           // 000000007E20: 7D8385B9
	s_nop 0                                                    // 000000007E24: BF800000
	v_cndmask_b32_e32 v111, v197, v111, vcc                    // 000000007E28: 00DEDFC5
	v_add_u32_e32 v185, 0x78, v184                             // 000000007E2C: 697370FF 00000078
	v_cmp_lt_i32_e32 vcc, v185, v194                           // 000000007E34: 7D8385B9
	s_nop 0                                                    // 000000007E38: BF800000
	v_cndmask_b32_e32 v112, v197, v112, vcc                    // 000000007E3C: 00E0E1C5
	v_add_u32_e32 v185, 0x79, v184                             // 000000007E40: 697370FF 00000079
	v_cmp_lt_i32_e32 vcc, v185, v194                           // 000000007E48: 7D8385B9
	s_nop 0                                                    // 000000007E4C: BF800000
	v_cndmask_b32_e32 v113, v197, v113, vcc                    // 000000007E50: 00E2E3C5
	v_add_u32_e32 v185, 0x7a, v184                             // 000000007E54: 697370FF 0000007A
	v_cmp_lt_i32_e32 vcc, v185, v194                           // 000000007E5C: 7D8385B9
	s_nop 0                                                    // 000000007E60: BF800000
	v_cndmask_b32_e32 v114, v197, v114, vcc                    // 000000007E64: 00E4E5C5
	v_add_u32_e32 v185, 0x7b, v184                             // 000000007E68: 697370FF 0000007B
	v_cmp_lt_i32_e32 vcc, v185, v194                           // 000000007E70: 7D8385B9
	s_nop 0                                                    // 000000007E74: BF800000
	v_cndmask_b32_e32 v115, v197, v115, vcc                    // 000000007E78: 00E6E7C5
	v_mov_b32_e32 v193, v192                                   // 000000007E7C: 7F8203C0
	v_max3_f32 v193, v52, v53, v193                            // 000000007E80: D1D300C1 07066B34
	v_max3_f32 v193, v54, v55, v193                            // 000000007E88: D1D300C1 07066F36
	v_max3_f32 v193, v56, v57, v193                            // 000000007E90: D1D300C1 07067338
	v_max3_f32 v193, v58, v59, v193                            // 000000007E98: D1D300C1 0706773A
	v_max3_f32 v193, v60, v61, v193                            // 000000007EA0: D1D300C1 07067B3C
	v_max3_f32 v193, v62, v63, v193                            // 000000007EA8: D1D300C1 07067F3E
	v_max3_f32 v193, v64, v65, v193                            // 000000007EB0: D1D300C1 07068340
	v_max3_f32 v193, v66, v67, v193                            // 000000007EB8: D1D300C1 07068742
	v_max3_f32 v193, v68, v69, v193                            // 000000007EC0: D1D300C1 07068B44
	v_max3_f32 v193, v70, v71, v193                            // 000000007EC8: D1D300C1 07068F46
	v_max3_f32 v193, v72, v73, v193                            // 000000007ED0: D1D300C1 07069348
	v_max3_f32 v193, v74, v75, v193                            // 000000007ED8: D1D300C1 0706974A
	v_max3_f32 v193, v76, v77, v193                            // 000000007EE0: D1D300C1 07069B4C
	v_max3_f32 v193, v78, v79, v193                            // 000000007EE8: D1D300C1 07069F4E
	v_max3_f32 v193, v80, v81, v193                            // 000000007EF0: D1D300C1 0706A350
	v_max3_f32 v193, v82, v83, v193                            // 000000007EF8: D1D300C1 0706A752
	v_max3_f32 v193, v84, v85, v193                            // 000000007F00: D1D300C1 0706AB54
	v_max3_f32 v193, v86, v87, v193                            // 000000007F08: D1D300C1 0706AF56
	v_max3_f32 v193, v88, v89, v193                            // 000000007F10: D1D300C1 0706B358
	v_max3_f32 v193, v90, v91, v193                            // 000000007F18: D1D300C1 0706B75A
	v_max3_f32 v193, v92, v93, v193                            // 000000007F20: D1D300C1 0706BB5C
	v_max3_f32 v193, v94, v95, v193                            // 000000007F28: D1D300C1 0706BF5E
	v_max3_f32 v193, v96, v97, v193                            // 000000007F30: D1D300C1 0706C360
	v_max3_f32 v193, v98, v99, v193                            // 000000007F38: D1D300C1 0706C762
	v_max3_f32 v193, v100, v101, v193                          // 000000007F40: D1D300C1 0706CB64
	v_max3_f32 v193, v102, v103, v193                          // 000000007F48: D1D300C1 0706CF66
	v_max3_f32 v193, v104, v105, v193                          // 000000007F50: D1D300C1 0706D368
	v_max3_f32 v193, v106, v107, v193                          // 000000007F58: D1D300C1 0706D76A
	v_max3_f32 v193, v108, v109, v193                          // 000000007F60: D1D300C1 0706DB6C
	v_max3_f32 v193, v110, v111, v193                          // 000000007F68: D1D300C1 0706DF6E
	v_max3_f32 v193, v112, v113, v193                          // 000000007F70: D1D300C1 0706E370
	v_max3_f32 v193, v114, v115, v193                          // 000000007F78: D1D300C1 0706E772
	v_mov_b32_e32 v184, v193                                   // 000000007F80: 7F7003C1
	s_nop 1                                                    // 000000007F84: BF800001
	s_nop 0                                                    // 000000007F88: BF800000
	v_permlane32_swap_b32_e32 v184, v193                       // 000000007F8C: 7F70B5C1
	v_max_f32_e32 v193, v193, v184                             // 000000007F90: 178371C1
	v_cmp_eq_u32_e64 s[66:67], v197, v193                      // 000000007F94: D0CA0042 000383C5
	s_nop 0                                                    // 000000007F9C: BF800000
	v_cndmask_b32_e64 v193, v193, 0, s[66:67]                  // 000000007FA0: D10000C1 010901C1
	v_mul_f32_e64 v184, -s26, v193                             // 000000007FA8: D10500B8 2003821A
	v_mov_b32_e32 v185, v184                                   // 000000007FB0: 7F7203B8
	v_pk_fma_f32 v[52:53], v[52:53], s[26:27], v[184:185]      // 000000007FB4: D3B04034 1EE03534
	v_pk_fma_f32 v[54:55], v[54:55], s[26:27], v[184:185]      // 000000007FBC: D3B04036 1EE03536
	v_pk_fma_f32 v[56:57], v[56:57], s[26:27], v[184:185]      // 000000007FC4: D3B04038 1EE03538
	v_pk_fma_f32 v[58:59], v[58:59], s[26:27], v[184:185]      // 000000007FCC: D3B0403A 1EE0353A
	v_pk_fma_f32 v[60:61], v[60:61], s[26:27], v[184:185]      // 000000007FD4: D3B0403C 1EE0353C
	v_pk_fma_f32 v[62:63], v[62:63], s[26:27], v[184:185]      // 000000007FDC: D3B0403E 1EE0353E
	v_pk_fma_f32 v[64:65], v[64:65], s[26:27], v[184:185]      // 000000007FE4: D3B04040 1EE03540
	v_pk_fma_f32 v[66:67], v[66:67], s[26:27], v[184:185]      // 000000007FEC: D3B04042 1EE03542
	v_pk_fma_f32 v[68:69], v[68:69], s[26:27], v[184:185]      // 000000007FF4: D3B04044 1EE03544
	v_pk_fma_f32 v[70:71], v[70:71], s[26:27], v[184:185]      // 000000007FFC: D3B04046 1EE03546
	v_pk_fma_f32 v[72:73], v[72:73], s[26:27], v[184:185]      // 000000008004: D3B04048 1EE03548
	v_pk_fma_f32 v[74:75], v[74:75], s[26:27], v[184:185]      // 00000000800C: D3B0404A 1EE0354A
	v_pk_fma_f32 v[76:77], v[76:77], s[26:27], v[184:185]      // 000000008014: D3B0404C 1EE0354C
	v_pk_fma_f32 v[78:79], v[78:79], s[26:27], v[184:185]      // 00000000801C: D3B0404E 1EE0354E
	v_pk_fma_f32 v[80:81], v[80:81], s[26:27], v[184:185]      // 000000008024: D3B04050 1EE03550
	v_pk_fma_f32 v[82:83], v[82:83], s[26:27], v[184:185]      // 00000000802C: D3B04052 1EE03552
	v_pk_fma_f32 v[84:85], v[84:85], s[26:27], v[184:185]      // 000000008034: D3B04054 1EE03554
	v_pk_fma_f32 v[86:87], v[86:87], s[26:27], v[184:185]      // 00000000803C: D3B04056 1EE03556
	v_pk_fma_f32 v[88:89], v[88:89], s[26:27], v[184:185]      // 000000008044: D3B04058 1EE03558
	v_pk_fma_f32 v[90:91], v[90:91], s[26:27], v[184:185]      // 00000000804C: D3B0405A 1EE0355A
	v_pk_fma_f32 v[92:93], v[92:93], s[26:27], v[184:185]      // 000000008054: D3B0405C 1EE0355C
	v_pk_fma_f32 v[94:95], v[94:95], s[26:27], v[184:185]      // 00000000805C: D3B0405E 1EE0355E
	v_pk_fma_f32 v[96:97], v[96:97], s[26:27], v[184:185]      // 000000008064: D3B04060 1EE03560
	v_pk_fma_f32 v[98:99], v[98:99], s[26:27], v[184:185]      // 00000000806C: D3B04062 1EE03562
	v_pk_fma_f32 v[100:101], v[100:101], s[26:27], v[184:185]  // 000000008074: D3B04064 1EE03564
	v_pk_fma_f32 v[102:103], v[102:103], s[26:27], v[184:185]  // 00000000807C: D3B04066 1EE03566
	v_pk_fma_f32 v[104:105], v[104:105], s[26:27], v[184:185]  // 000000008084: D3B04068 1EE03568
	v_pk_fma_f32 v[106:107], v[106:107], s[26:27], v[184:185]  // 00000000808C: D3B0406A 1EE0356A
	v_pk_fma_f32 v[108:109], v[108:109], s[26:27], v[184:185]  // 000000008094: D3B0406C 1EE0356C
	v_pk_fma_f32 v[110:111], v[110:111], s[26:27], v[184:185]  // 00000000809C: D3B0406E 1EE0356E
	v_pk_fma_f32 v[112:113], v[112:113], s[26:27], v[184:185]  // 0000000080A4: D3B04070 1EE03570
	v_pk_fma_f32 v[114:115], v[114:115], s[26:27], v[184:185]  // 0000000080AC: D3B04072 1EE03572
	s_barrier                                                  // 0000000080B4: BF8A0000
	v_exp_f32_e32 v52, v52                                     // 0000000080B8: 7E684134
	v_exp_f32_e32 v53, v53                                     // 0000000080BC: 7E6A4135
	v_exp_f32_e32 v54, v54                                     // 0000000080C0: 7E6C4136
	v_exp_f32_e32 v55, v55                                     // 0000000080C4: 7E6E4137
	v_exp_f32_e32 v56, v56                                     // 0000000080C8: 7E704138
	v_exp_f32_e32 v57, v57                                     // 0000000080CC: 7E724139
	v_exp_f32_e32 v58, v58                                     // 0000000080D0: 7E74413A
	v_exp_f32_e32 v59, v59                                     // 0000000080D4: 7E76413B
	v_exp_f32_e32 v60, v60                                     // 0000000080D8: 7E78413C
	v_exp_f32_e32 v61, v61                                     // 0000000080DC: 7E7A413D
	v_exp_f32_e32 v62, v62                                     // 0000000080E0: 7E7C413E
	v_exp_f32_e32 v63, v63                                     // 0000000080E4: 7E7E413F
	v_exp_f32_e32 v64, v64                                     // 0000000080E8: 7E804140
	v_exp_f32_e32 v65, v65                                     // 0000000080EC: 7E824141
	v_exp_f32_e32 v66, v66                                     // 0000000080F0: 7E844142
	v_exp_f32_e32 v67, v67                                     // 0000000080F4: 7E864143
	v_exp_f32_e32 v68, v68                                     // 0000000080F8: 7E884144
	v_exp_f32_e32 v69, v69                                     // 0000000080FC: 7E8A4145
	v_exp_f32_e32 v70, v70                                     // 000000008100: 7E8C4146
	v_exp_f32_e32 v71, v71                                     // 000000008104: 7E8E4147
	v_exp_f32_e32 v72, v72                                     // 000000008108: 7E904148
	v_exp_f32_e32 v73, v73                                     // 00000000810C: 7E924149
	v_exp_f32_e32 v74, v74                                     // 000000008110: 7E94414A
	v_exp_f32_e32 v75, v75                                     // 000000008114: 7E96414B
	v_exp_f32_e32 v76, v76                                     // 000000008118: 7E98414C
	v_exp_f32_e32 v77, v77                                     // 00000000811C: 7E9A414D
	v_exp_f32_e32 v78, v78                                     // 000000008120: 7E9C414E
	v_exp_f32_e32 v79, v79                                     // 000000008124: 7E9E414F
	v_exp_f32_e32 v80, v80                                     // 000000008128: 7EA04150
	v_exp_f32_e32 v81, v81                                     // 00000000812C: 7EA24151
	v_exp_f32_e32 v82, v82                                     // 000000008130: 7EA44152
	v_exp_f32_e32 v83, v83                                     // 000000008134: 7EA64153
	v_exp_f32_e32 v84, v84                                     // 000000008138: 7EA84154
	v_exp_f32_e32 v85, v85                                     // 00000000813C: 7EAA4155
	v_exp_f32_e32 v86, v86                                     // 000000008140: 7EAC4156
	v_exp_f32_e32 v87, v87                                     // 000000008144: 7EAE4157
	v_exp_f32_e32 v88, v88                                     // 000000008148: 7EB04158
	v_exp_f32_e32 v89, v89                                     // 00000000814C: 7EB24159
	v_exp_f32_e32 v90, v90                                     // 000000008150: 7EB4415A
	v_exp_f32_e32 v91, v91                                     // 000000008154: 7EB6415B
	v_exp_f32_e32 v92, v92                                     // 000000008158: 7EB8415C
	v_exp_f32_e32 v93, v93                                     // 00000000815C: 7EBA415D
	v_exp_f32_e32 v94, v94                                     // 000000008160: 7EBC415E
	v_exp_f32_e32 v95, v95                                     // 000000008164: 7EBE415F
	v_exp_f32_e32 v96, v96                                     // 000000008168: 7EC04160
	v_exp_f32_e32 v97, v97                                     // 00000000816C: 7EC24161
	v_exp_f32_e32 v98, v98                                     // 000000008170: 7EC44162
	v_exp_f32_e32 v99, v99                                     // 000000008174: 7EC64163
	v_exp_f32_e32 v100, v100                                   // 000000008178: 7EC84164
	v_exp_f32_e32 v101, v101                                   // 00000000817C: 7ECA4165
	v_exp_f32_e32 v102, v102                                   // 000000008180: 7ECC4166
	v_exp_f32_e32 v103, v103                                   // 000000008184: 7ECE4167
	v_exp_f32_e32 v104, v104                                   // 000000008188: 7ED04168
	v_exp_f32_e32 v105, v105                                   // 00000000818C: 7ED24169
	v_exp_f32_e32 v106, v106                                   // 000000008190: 7ED4416A
	v_exp_f32_e32 v107, v107                                   // 000000008194: 7ED6416B
	v_exp_f32_e32 v108, v108                                   // 000000008198: 7ED8416C
	v_exp_f32_e32 v109, v109                                   // 00000000819C: 7EDA416D
	v_exp_f32_e32 v110, v110                                   // 0000000081A0: 7EDC416E
	v_exp_f32_e32 v111, v111                                   // 0000000081A4: 7EDE416F
	v_exp_f32_e32 v112, v112                                   // 0000000081A8: 7EE04170
	v_exp_f32_e32 v113, v113                                   // 0000000081AC: 7EE24171
	v_exp_f32_e32 v114, v114                                   // 0000000081B0: 7EE44172
	v_exp_f32_e32 v115, v115                                   // 0000000081B4: 7EE64173
	v_sub_f32_e32 v188, v192, v193                             // 0000000081B8: 057983C0
	v_cmp_eq_u32_e64 s[66:67], v197, v192                      // 0000000081BC: D0CA0042 000381C5
	s_nop 0                                                    // 0000000081C4: BF800000
	v_cndmask_b32_e64 v188, v188, 0, s[66:67]                  // 0000000081C8: D10000BC 010901BC
	v_mov_b32_e32 v192, v193                                   // 0000000081D0: 7F8003C1
	v_mul_f32_e32 v188, s26, v188                              // 0000000081D4: 0B79781A
	v_exp_f32_e32 v188, v188                                   // 0000000081D8: 7F7841BC
	s_nop 0                                                    // 0000000081DC: BF800000
	v_mul_f32_e32 v190, v188, v190                             // 0000000081E0: 0B7D7DBC
	v_add_f32_e32 v190, v52, v190                              // 0000000081E4: 037D7D34
	v_add_f32_e32 v190, v53, v190                              // 0000000081E8: 037D7D35
	v_add_f32_e32 v190, v54, v190                              // 0000000081EC: 037D7D36
	v_add_f32_e32 v190, v55, v190                              // 0000000081F0: 037D7D37
	v_add_f32_e32 v190, v56, v190                              // 0000000081F4: 037D7D38
	v_add_f32_e32 v190, v57, v190                              // 0000000081F8: 037D7D39
	v_add_f32_e32 v190, v58, v190                              // 0000000081FC: 037D7D3A
	v_add_f32_e32 v190, v59, v190                              // 000000008200: 037D7D3B
	v_add_f32_e32 v190, v60, v190                              // 000000008204: 037D7D3C
	v_add_f32_e32 v190, v61, v190                              // 000000008208: 037D7D3D
	v_add_f32_e32 v190, v62, v190                              // 00000000820C: 037D7D3E
	v_add_f32_e32 v190, v63, v190                              // 000000008210: 037D7D3F
	v_add_f32_e32 v190, v64, v190                              // 000000008214: 037D7D40
	v_add_f32_e32 v190, v65, v190                              // 000000008218: 037D7D41
	v_add_f32_e32 v190, v66, v190                              // 00000000821C: 037D7D42
	v_add_f32_e32 v190, v67, v190                              // 000000008220: 037D7D43
	v_add_f32_e32 v190, v68, v190                              // 000000008224: 037D7D44
	v_add_f32_e32 v190, v69, v190                              // 000000008228: 037D7D45
	v_add_f32_e32 v190, v70, v190                              // 00000000822C: 037D7D46
	v_add_f32_e32 v190, v71, v190                              // 000000008230: 037D7D47
	v_add_f32_e32 v190, v72, v190                              // 000000008234: 037D7D48
	v_add_f32_e32 v190, v73, v190                              // 000000008238: 037D7D49
	v_add_f32_e32 v190, v74, v190                              // 00000000823C: 037D7D4A
	v_add_f32_e32 v190, v75, v190                              // 000000008240: 037D7D4B
	v_add_f32_e32 v190, v76, v190                              // 000000008244: 037D7D4C
	v_add_f32_e32 v190, v77, v190                              // 000000008248: 037D7D4D
	v_add_f32_e32 v190, v78, v190                              // 00000000824C: 037D7D4E
	v_add_f32_e32 v190, v79, v190                              // 000000008250: 037D7D4F
	v_add_f32_e32 v190, v80, v190                              // 000000008254: 037D7D50
	v_add_f32_e32 v190, v81, v190                              // 000000008258: 037D7D51
	v_add_f32_e32 v190, v82, v190                              // 00000000825C: 037D7D52
	v_add_f32_e32 v190, v83, v190                              // 000000008260: 037D7D53
	v_add_f32_e32 v190, v84, v190                              // 000000008264: 037D7D54
	v_add_f32_e32 v190, v85, v190                              // 000000008268: 037D7D55
	v_add_f32_e32 v190, v86, v190                              // 00000000826C: 037D7D56
	v_add_f32_e32 v190, v87, v190                              // 000000008270: 037D7D57
	v_add_f32_e32 v190, v88, v190                              // 000000008274: 037D7D58
	v_add_f32_e32 v190, v89, v190                              // 000000008278: 037D7D59
	v_add_f32_e32 v190, v90, v190                              // 00000000827C: 037D7D5A
	v_add_f32_e32 v190, v91, v190                              // 000000008280: 037D7D5B
	v_add_f32_e32 v190, v92, v190                              // 000000008284: 037D7D5C
	v_add_f32_e32 v190, v93, v190                              // 000000008288: 037D7D5D
	v_add_f32_e32 v190, v94, v190                              // 00000000828C: 037D7D5E
	v_add_f32_e32 v190, v95, v190                              // 000000008290: 037D7D5F
	v_add_f32_e32 v190, v96, v190                              // 000000008294: 037D7D60
	v_add_f32_e32 v190, v97, v190                              // 000000008298: 037D7D61
	v_add_f32_e32 v190, v98, v190                              // 00000000829C: 037D7D62
	v_add_f32_e32 v190, v99, v190                              // 0000000082A0: 037D7D63
	v_add_f32_e32 v190, v100, v190                             // 0000000082A4: 037D7D64
	v_add_f32_e32 v190, v101, v190                             // 0000000082A8: 037D7D65
	v_add_f32_e32 v190, v102, v190                             // 0000000082AC: 037D7D66
	v_add_f32_e32 v190, v103, v190                             // 0000000082B0: 037D7D67
	v_add_f32_e32 v190, v104, v190                             // 0000000082B4: 037D7D68
	v_add_f32_e32 v190, v105, v190                             // 0000000082B8: 037D7D69
	v_add_f32_e32 v190, v106, v190                             // 0000000082BC: 037D7D6A
	v_add_f32_e32 v190, v107, v190                             // 0000000082C0: 037D7D6B
	v_add_f32_e32 v190, v108, v190                             // 0000000082C4: 037D7D6C
	v_add_f32_e32 v190, v109, v190                             // 0000000082C8: 037D7D6D
	v_add_f32_e32 v190, v110, v190                             // 0000000082CC: 037D7D6E
	v_add_f32_e32 v190, v111, v190                             // 0000000082D0: 037D7D6F
	v_add_f32_e32 v190, v112, v190                             // 0000000082D4: 037D7D70
	v_add_f32_e32 v190, v113, v190                             // 0000000082D8: 037D7D71
	v_add_f32_e32 v190, v114, v190                             // 0000000082DC: 037D7D72
	v_add_f32_e32 v190, v115, v190                             // 0000000082E0: 037D7D73
	v_mul_f32_e32 v116, v188, v116                             // 0000000082E4: 0AE8E9BC
	v_mul_f32_e32 v117, v188, v117                             // 0000000082E8: 0AEAEBBC
	v_mul_f32_e32 v118, v188, v118                             // 0000000082EC: 0AECEDBC
	v_mul_f32_e32 v119, v188, v119                             // 0000000082F0: 0AEEEFBC
	v_mul_f32_e32 v120, v188, v120                             // 0000000082F4: 0AF0F1BC
	v_mul_f32_e32 v121, v188, v121                             // 0000000082F8: 0AF2F3BC
	v_mul_f32_e32 v122, v188, v122                             // 0000000082FC: 0AF4F5BC
	v_mul_f32_e32 v123, v188, v123                             // 000000008300: 0AF6F7BC
	v_mul_f32_e32 v124, v188, v124                             // 000000008304: 0AF8F9BC
	v_mul_f32_e32 v125, v188, v125                             // 000000008308: 0AFAFBBC
	v_mul_f32_e32 v126, v188, v126                             // 00000000830C: 0AFCFDBC
	v_mul_f32_e32 v127, v188, v127                             // 000000008310: 0AFEFFBC
	v_mul_f32_e32 v128, v188, v128                             // 000000008314: 0B0101BC
	v_mul_f32_e32 v129, v188, v129                             // 000000008318: 0B0303BC
	v_mul_f32_e32 v130, v188, v130                             // 00000000831C: 0B0505BC
	v_mul_f32_e32 v131, v188, v131                             // 000000008320: 0B0707BC
	v_mul_f32_e32 v132, v188, v132                             // 000000008324: 0B0909BC
	v_mul_f32_e32 v133, v188, v133                             // 000000008328: 0B0B0BBC
	v_mul_f32_e32 v134, v188, v134                             // 00000000832C: 0B0D0DBC
	v_mul_f32_e32 v135, v188, v135                             // 000000008330: 0B0F0FBC
	v_mul_f32_e32 v136, v188, v136                             // 000000008334: 0B1111BC
	v_mul_f32_e32 v137, v188, v137                             // 000000008338: 0B1313BC
	v_mul_f32_e32 v138, v188, v138                             // 00000000833C: 0B1515BC
	v_mul_f32_e32 v139, v188, v139                             // 000000008340: 0B1717BC
	v_mul_f32_e32 v140, v188, v140                             // 000000008344: 0B1919BC
	v_mul_f32_e32 v141, v188, v141                             // 000000008348: 0B1B1BBC
	v_mul_f32_e32 v142, v188, v142                             // 00000000834C: 0B1D1DBC
	v_mul_f32_e32 v143, v188, v143                             // 000000008350: 0B1F1FBC
	v_mul_f32_e32 v144, v188, v144                             // 000000008354: 0B2121BC
	v_mul_f32_e32 v145, v188, v145                             // 000000008358: 0B2323BC
	v_mul_f32_e32 v146, v188, v146                             // 00000000835C: 0B2525BC
	v_mul_f32_e32 v147, v188, v147                             // 000000008360: 0B2727BC
	v_mul_f32_e32 v148, v188, v148                             // 000000008364: 0B2929BC
	v_mul_f32_e32 v149, v188, v149                             // 000000008368: 0B2B2BBC
	v_mul_f32_e32 v150, v188, v150                             // 00000000836C: 0B2D2DBC
	v_mul_f32_e32 v151, v188, v151                             // 000000008370: 0B2F2FBC
	v_mul_f32_e32 v152, v188, v152                             // 000000008374: 0B3131BC
	v_mul_f32_e32 v153, v188, v153                             // 000000008378: 0B3333BC
	v_mul_f32_e32 v154, v188, v154                             // 00000000837C: 0B3535BC
	v_mul_f32_e32 v155, v188, v155                             // 000000008380: 0B3737BC
	v_mul_f32_e32 v156, v188, v156                             // 000000008384: 0B3939BC
	v_mul_f32_e32 v157, v188, v157                             // 000000008388: 0B3B3BBC
	v_mul_f32_e32 v158, v188, v158                             // 00000000838C: 0B3D3DBC
	v_mul_f32_e32 v159, v188, v159                             // 000000008390: 0B3F3FBC
	v_mul_f32_e32 v160, v188, v160                             // 000000008394: 0B4141BC
	v_mul_f32_e32 v161, v188, v161                             // 000000008398: 0B4343BC
	v_mul_f32_e32 v162, v188, v162                             // 00000000839C: 0B4545BC
	v_mul_f32_e32 v163, v188, v163                             // 0000000083A0: 0B4747BC
	v_mul_f32_e32 v164, v188, v164                             // 0000000083A4: 0B4949BC
	v_mul_f32_e32 v165, v188, v165                             // 0000000083A8: 0B4B4BBC
	v_mul_f32_e32 v166, v188, v166                             // 0000000083AC: 0B4D4DBC
	v_mul_f32_e32 v167, v188, v167                             // 0000000083B0: 0B4F4FBC
	v_mul_f32_e32 v168, v188, v168                             // 0000000083B4: 0B5151BC
	v_mul_f32_e32 v169, v188, v169                             // 0000000083B8: 0B5353BC
	v_mul_f32_e32 v170, v188, v170                             // 0000000083BC: 0B5555BC
	v_mul_f32_e32 v171, v188, v171                             // 0000000083C0: 0B5757BC
	v_mul_f32_e32 v172, v188, v172                             // 0000000083C4: 0B5959BC
	v_mul_f32_e32 v173, v188, v173                             // 0000000083C8: 0B5B5BBC
	v_mul_f32_e32 v174, v188, v174                             // 0000000083CC: 0B5D5DBC
	v_mul_f32_e32 v175, v188, v175                             // 0000000083D0: 0B5F5FBC
	v_mul_f32_e32 v176, v188, v176                             // 0000000083D4: 0B6161BC
	v_mul_f32_e32 v177, v188, v177                             // 0000000083D8: 0B6363BC
	v_mul_f32_e32 v178, v188, v178                             // 0000000083DC: 0B6565BC
	v_mul_f32_e32 v179, v188, v179                             // 0000000083E0: 0B6767BC
	v_mov_b32_e32 v189, v188                                   // 0000000083E4: 7F7A03BC
	s_barrier                                                  // 0000000083E8: BF8A0000
	v_cvt_pk_fp8_f32 v52, v52, v53                             // 0000000083EC: D2A20034 00026B34
	v_cvt_pk_fp8_f32 v52, v54, v55 op_sel:[0,0,1]              // 0000000083F4: D2A24034 00026F36
	v_cvt_pk_fp8_f32 v53, v56, v57                             // 0000000083FC: D2A20035 00027338
	v_cvt_pk_fp8_f32 v53, v58, v59 op_sel:[0,0,1]              // 000000008404: D2A24035 0002773A
	v_cvt_pk_fp8_f32 v54, v60, v61                             // 00000000840C: D2A20036 00027B3C
	v_cvt_pk_fp8_f32 v54, v62, v63 op_sel:[0,0,1]              // 000000008414: D2A24036 00027F3E
	v_cvt_pk_fp8_f32 v55, v64, v65                             // 00000000841C: D2A20037 00028340
	v_cvt_pk_fp8_f32 v55, v66, v67 op_sel:[0,0,1]              // 000000008424: D2A24037 00028742
	v_cvt_pk_fp8_f32 v56, v68, v69                             // 00000000842C: D2A20038 00028B44
	v_cvt_pk_fp8_f32 v56, v70, v71 op_sel:[0,0,1]              // 000000008434: D2A24038 00028F46
	v_cvt_pk_fp8_f32 v57, v72, v73                             // 00000000843C: D2A20039 00029348
	v_cvt_pk_fp8_f32 v57, v74, v75 op_sel:[0,0,1]              // 000000008444: D2A24039 0002974A
	v_cvt_pk_fp8_f32 v58, v76, v77                             // 00000000844C: D2A2003A 00029B4C
	v_cvt_pk_fp8_f32 v58, v78, v79 op_sel:[0,0,1]              // 000000008454: D2A2403A 00029F4E
	v_cvt_pk_fp8_f32 v59, v80, v81                             // 00000000845C: D2A2003B 0002A350
	v_cvt_pk_fp8_f32 v59, v82, v83 op_sel:[0,0,1]              // 000000008464: D2A2403B 0002A752
	v_cvt_pk_fp8_f32 v60, v84, v85                             // 00000000846C: D2A2003C 0002AB54
	v_cvt_pk_fp8_f32 v60, v86, v87 op_sel:[0,0,1]              // 000000008474: D2A2403C 0002AF56
	v_cvt_pk_fp8_f32 v61, v88, v89                             // 00000000847C: D2A2003D 0002B358
	v_cvt_pk_fp8_f32 v61, v90, v91 op_sel:[0,0,1]              // 000000008484: D2A2403D 0002B75A
	v_cvt_pk_fp8_f32 v62, v92, v93                             // 00000000848C: D2A2003E 0002BB5C
	v_cvt_pk_fp8_f32 v62, v94, v95 op_sel:[0,0,1]              // 000000008494: D2A2403E 0002BF5E
	v_cvt_pk_fp8_f32 v63, v96, v97                             // 00000000849C: D2A2003F 0002C360
	v_cvt_pk_fp8_f32 v63, v98, v99 op_sel:[0,0,1]              // 0000000084A4: D2A2403F 0002C762
	v_cvt_pk_fp8_f32 v64, v100, v101                           // 0000000084AC: D2A20040 0002CB64
	v_cvt_pk_fp8_f32 v64, v102, v103 op_sel:[0,0,1]            // 0000000084B4: D2A24040 0002CF66
	v_cvt_pk_fp8_f32 v65, v104, v105                           // 0000000084BC: D2A20041 0002D368
	v_cvt_pk_fp8_f32 v65, v106, v107 op_sel:[0,0,1]            // 0000000084C4: D2A24041 0002D76A
	v_cvt_pk_fp8_f32 v66, v108, v109                           // 0000000084CC: D2A20042 0002DB6C
	v_cvt_pk_fp8_f32 v66, v110, v111 op_sel:[0,0,1]            // 0000000084D4: D2A24042 0002DF6E
	v_cvt_pk_fp8_f32 v67, v112, v113                           // 0000000084DC: D2A20043 0002E370
	v_cvt_pk_fp8_f32 v67, v114, v115 op_sel:[0,0,1]            // 0000000084E4: D2A24043 0002E772
	s_barrier                                                  // 0000000084EC: BF8A0000
	s_waitcnt vmcnt(0)                                         // 0000000084F0: BF8C0F70
	s_waitcnt lgkmcnt(8)                                       // 0000000084F4: BF8CC87F
	s_setprio 1                                                // 0000000084F8: BF8F0001
	s_barrier                                                  // 0000000084FC: BF8A0000
	v_mfma_f32_32x32x64_f8f6f4 v[116:131], v[20:27], v[52:59], v[116:131]// 000000008500: D3AE0074 05D26914
	ds_read_b64_tr_b8 v[36:37], v219 offset:16672              // 000000008508: D9C44120 240000DB
	ds_read_b64_tr_b8 v[38:39], v219 offset:16928              // 000000008510: D9C44220 260000DB
	ds_read_b64_tr_b8 v[40:41], v219 offset:17184              // 000000008518: D9C44320 280000DB
	ds_read_b64_tr_b8 v[42:43], v219 offset:17440              // 000000008520: D9C44420 2A0000DB
	s_waitcnt lgkmcnt(8)                                       // 000000008528: BF8CC87F
	v_mfma_f32_32x32x64_f8f6f4 v[116:131], v[28:35], v[60:67], v[116:131]// 00000000852C: D3AE0074 05D2791C
	ds_read_b64_tr_b8 v[44:45], v219 offset:24992              // 000000008534: D9C461A0 2C0000DB
	ds_read_b64_tr_b8 v[46:47], v219 offset:25248              // 00000000853C: D9C462A0 2E0000DB
	ds_read_b64_tr_b8 v[48:49], v219 offset:25504              // 000000008544: D9C463A0 300000DB
	ds_read_b64_tr_b8 v[50:51], v219 offset:25760              // 00000000854C: D9C464A0 320000DB
	s_waitcnt lgkmcnt(8)                                       // 000000008554: BF8CC87F
	v_mfma_f32_32x32x64_f8f6f4 v[132:147], v[36:43], v[52:59], v[132:147]// 000000008558: D3AE0084 06126924
	ds_read_b64_tr_b8 v[20:21], v219 offset:16704              // 000000008560: D9C44140 140000DB
	ds_read_b64_tr_b8 v[22:23], v219 offset:16960              // 000000008568: D9C44240 160000DB
	ds_read_b64_tr_b8 v[24:25], v219 offset:17216              // 000000008570: D9C44340 180000DB
	ds_read_b64_tr_b8 v[26:27], v219 offset:17472              // 000000008578: D9C44440 1A0000DB
	s_waitcnt lgkmcnt(8)                                       // 000000008580: BF8CC87F
	v_mfma_f32_32x32x64_f8f6f4 v[132:147], v[44:51], v[60:67], v[132:147]// 000000008584: D3AE0084 0612792C
	ds_read_b64_tr_b8 v[28:29], v219 offset:25024              // 00000000858C: D9C461C0 1C0000DB
	ds_read_b64_tr_b8 v[30:31], v219 offset:25280              // 000000008594: D9C462C0 1E0000DB
	ds_read_b64_tr_b8 v[32:33], v219 offset:25536              // 00000000859C: D9C463C0 200000DB
	ds_read_b64_tr_b8 v[34:35], v219 offset:25792              // 0000000085A4: D9C464C0 220000DB
	s_waitcnt lgkmcnt(8)                                       // 0000000085AC: BF8CC87F
	v_mfma_f32_32x32x64_f8f6f4 v[148:163], v[20:27], v[52:59], v[148:163]// 0000000085B0: D3AE0094 06526914
	ds_read_b64_tr_b8 v[36:37], v219 offset:16736              // 0000000085B8: D9C44160 240000DB
	ds_read_b64_tr_b8 v[38:39], v219 offset:16992              // 0000000085C0: D9C44260 260000DB
	ds_read_b64_tr_b8 v[40:41], v219 offset:17248              // 0000000085C8: D9C44360 280000DB
	ds_read_b64_tr_b8 v[42:43], v219 offset:17504              // 0000000085D0: D9C44460 2A0000DB
	s_waitcnt lgkmcnt(8)                                       // 0000000085D8: BF8CC87F
	v_mfma_f32_32x32x64_f8f6f4 v[148:163], v[28:35], v[60:67], v[148:163]// 0000000085DC: D3AE0094 0652791C
	ds_read_b64_tr_b8 v[44:45], v219 offset:25056              // 0000000085E4: D9C461E0 2C0000DB
	ds_read_b64_tr_b8 v[46:47], v219 offset:25312              // 0000000085EC: D9C462E0 2E0000DB
	ds_read_b64_tr_b8 v[48:49], v219 offset:25568              // 0000000085F4: D9C463E0 300000DB
	ds_read_b64_tr_b8 v[50:51], v219 offset:25824              // 0000000085FC: D9C464E0 320000DB
	s_waitcnt lgkmcnt(8)                                       // 000000008604: BF8CC87F
	v_mfma_f32_32x32x64_f8f6f4 v[164:179], v[36:43], v[52:59], v[164:179]// 000000008608: D3AE00A4 06926924
	ds_read_b128 v[20:23], v218                                // 000000008610: D9FE0000 140000DA
	ds_read_b128 v[24:27], v218 offset:32                      // 000000008618: D9FE0020 180000DA
	s_waitcnt lgkmcnt(6)                                       // 000000008620: BF8CC67F
	v_mfma_f32_32x32x64_f8f6f4 v[164:179], v[44:51], v[60:67], v[164:179]// 000000008624: D3AE00A4 0692792C
	ds_read_b128 v[28:31], v218 offset:4160                    // 00000000862C: D9FE1040 1C0000DA
	ds_read_b128 v[32:35], v218 offset:4192                    // 000000008634: D9FE1060 200000DA
	s_addk_i32 s68, 0x80                                       // 00000000863C: B7440080
	s_branch label_2EC8                                        // 000000008640: BF82F921

0000000000008644 <label_4A44>:
	s_cmp_lt_i32 s68, s43                                      // 000000008644: BF042B44
	s_cbranch_scc0 label_6608                                  // 000000008648: BF8406EF
	s_waitcnt lgkmcnt(2)                                       // 00000000864C: BF8CC27F
	v_mfma_f32_32x32x64_f8f6f4 v[52:67], v[20:27], v[4:11], 0  // 000000008650: D3AE0034 02020914
	v_mul_i32_i24_dpp v184, v182, v223 quad_perm:[0,0,0,0] row_mask:0xf bank_mask:0xf// 000000008658: 0D71BEFA FF0000B6
	v_mul_i32_i24_dpp v185, v182, v223 quad_perm:[1,1,1,1] row_mask:0xf bank_mask:0xf// 000000008660: 0D73BEFA FF0055B6
	v_mul_i32_i24_dpp v186, v182, v223 quad_perm:[2,2,2,2] row_mask:0xf bank_mask:0xf// 000000008668: 0D75BEFA FF00AAB6
	v_mul_i32_i24_dpp v187, v182, v223 quad_perm:[3,3,3,3] row_mask:0xf bank_mask:0xf// 000000008670: 0D77BEFA FF00FFB6
	v_add_u32_e32 v214, v213, v184                             // 000000008678: 69AD71D5
	v_add_u32_e32 v215, v213, v185                             // 00000000867C: 69AF73D5
	v_add_u32_e32 v216, v213, v186                             // 000000008680: 69B175D5
	v_add_u32_e32 v217, v213, v187                             // 000000008684: 69B377D5
	ds_read_b128 v[36:39], v218 offset:512                     // 000000008688: D9FE0200 240000DA
	ds_read_b128 v[40:43], v218 offset:544                     // 000000008690: D9FE0220 280000DA
	s_waitcnt lgkmcnt(2)                                       // 000000008698: BF8CC27F
	v_mfma_f32_32x32x64_f8f6f4 v[52:67], v[28:35], v[12:19], v[52:67]// 00000000869C: D3AE0034 04D2191C
	s_add_u32 m0, s72, 0x4100                                  // 0000000086A4: 807CFF48 00004100
	buffer_load_dwordx4 v214, s[16:19], 0 offen lds            // 0000000086AC: E05D1000 800400D6
	ds_read_b128 v[44:47], v218 offset:4672                    // 0000000086B4: D9FE1240 2C0000DA
	ds_read_b128 v[48:51], v218 offset:4704                    // 0000000086BC: D9FE1260 300000DA
	s_waitcnt lgkmcnt(2)                                       // 0000000086C4: BF8CC27F
	v_mfma_f32_32x32x64_f8f6f4 v[68:83], v[36:43], v[4:11], 0  // 0000000086C8: D3AE0044 02020924
	s_add_u32 m0, s72, 0x4510                                  // 0000000086D0: 807CFF48 00004510
	buffer_load_dwordx4 v215, s[16:19], 0 offen lds            // 0000000086D8: E05D1000 800400D7
	ds_read_b128 v[20:23], v218 offset:8320                    // 0000000086E0: D9FE2080 140000DA
	ds_read_b128 v[24:27], v218 offset:8352                    // 0000000086E8: D9FE20A0 180000DA
	s_waitcnt lgkmcnt(2)                                       // 0000000086F0: BF8CC27F
	v_mfma_f32_32x32x64_f8f6f4 v[68:83], v[44:51], v[12:19], v[68:83]// 0000000086F4: D3AE0044 0512192C
	s_add_u32 m0, s72, 0x4920                                  // 0000000086FC: 807CFF48 00004920
	buffer_load_dwordx4 v216, s[16:19], 0 offen lds            // 000000008704: E05D1000 800400D8
	ds_read_b128 v[28:31], v218 offset:12480                   // 00000000870C: D9FE30C0 1C0000DA
	ds_read_b128 v[32:35], v218 offset:12512                   // 000000008714: D9FE30E0 200000DA
	s_waitcnt lgkmcnt(2)                                       // 00000000871C: BF8CC27F
	v_mfma_f32_32x32x64_f8f6f4 v[84:99], v[20:27], v[4:11], 0  // 000000008720: D3AE0054 02020914
	s_add_u32 m0, s72, 0x4d30                                  // 000000008728: 807CFF48 00004D30
	buffer_load_dwordx4 v217, s[16:19], 0 offen lds            // 000000008730: E05D1000 800400D9
	ds_read_b128 v[36:39], v218 offset:8832                    // 000000008738: D9FE2280 240000DA
	ds_read_b128 v[40:43], v218 offset:8864                    // 000000008740: D9FE22A0 280000DA
	s_waitcnt lgkmcnt(2)                                       // 000000008748: BF8CC27F
	v_mfma_f32_32x32x64_f8f6f4 v[84:99], v[28:35], v[12:19], v[84:99]// 00000000874C: D3AE0054 0552191C
	v_lshrrev_b32_e32 v181, 2, v209                            // 000000008754: 216BA282
	ds_read_b128 v[44:47], v218 offset:12992                   // 000000008758: D9FE32C0 2C0000DA
	ds_read_b128 v[48:51], v218 offset:13024                   // 000000008760: D9FE32E0 300000DA
	s_waitcnt lgkmcnt(2)                                       // 000000008768: BF8CC27F
	v_mfma_f32_32x32x64_f8f6f4 v[100:115], v[36:43], v[4:11], 0// 00000000876C: D3AE0064 02020924
	v_add_u32_e32 v184, 0x200, v209                            // 000000008774: 6971A2FF 00000200
	v_lshrrev_b32_e32 v182, 2, v184                            // 00000000877C: 216D7082
	v_add_u32_e32 v209, 0x400, v209                            // 000000008780: 69A3A2FF 00000400
	ds_read_b64_tr_b8 v[20:21], v219                           // 000000008788: D9C40000 140000DB
	ds_read_b64_tr_b8 v[22:23], v219 offset:256                // 000000008790: D9C40100 160000DB
	ds_read_b64_tr_b8 v[24:25], v219 offset:512                // 000000008798: D9C40200 180000DB
	ds_read_b64_tr_b8 v[26:27], v219 offset:768                // 0000000087A0: D9C40300 1A0000DB
	s_waitcnt lgkmcnt(4)                                       // 0000000087A8: BF8CC47F
	v_mfma_f32_32x32x64_f8f6f4 v[100:115], v[44:51], v[12:19], v[100:115]// 0000000087AC: D3AE0064 0592192C
	ds_read_b64_tr_b8 v[28:29], v219 offset:8320               // 0000000087B4: D9C42080 1C0000DB
	ds_read_b64_tr_b8 v[30:31], v219 offset:8576               // 0000000087BC: D9C42180 1E0000DB
	ds_read_b64_tr_b8 v[32:33], v219 offset:8832               // 0000000087C4: D9C42280 200000DB
	ds_read_b64_tr_b8 v[34:35], v219 offset:9088               // 0000000087CC: D9C42380 220000DB
	s_nop 5                                                    // 0000000087D4: BF800005
	s_barrier                                                  // 0000000087D8: BF8A0000
	s_setprio 0                                                // 0000000087DC: BF8F0000
	s_barrier                                                  // 0000000087E0: BF8A0000
	v_add_u32_e32 v184, s68, v195                              // 0000000087E4: 69718644
	v_add_u32_e32 v185, 0, v184                                // 0000000087E8: 69737080
	v_cmp_lt_i32_e32 vcc, v185, v194                           // 0000000087EC: 7D8385B9
	s_nop 0                                                    // 0000000087F0: BF800000
	v_cndmask_b32_e32 v52, v197, v52, vcc                      // 0000000087F4: 006869C5
	v_add_u32_e32 v185, 1, v184                                // 0000000087F8: 69737081
	v_cmp_lt_i32_e32 vcc, v185, v194                           // 0000000087FC: 7D8385B9
	s_nop 0                                                    // 000000008800: BF800000
	v_cndmask_b32_e32 v53, v197, v53, vcc                      // 000000008804: 006A6BC5
	v_add_u32_e32 v185, 2, v184                                // 000000008808: 69737082
	v_cmp_lt_i32_e32 vcc, v185, v194                           // 00000000880C: 7D8385B9
	s_nop 0                                                    // 000000008810: BF800000
	v_cndmask_b32_e32 v54, v197, v54, vcc                      // 000000008814: 006C6DC5
	v_add_u32_e32 v185, 3, v184                                // 000000008818: 69737083
	v_cmp_lt_i32_e32 vcc, v185, v194                           // 00000000881C: 7D8385B9
	s_nop 0                                                    // 000000008820: BF800000
	v_cndmask_b32_e32 v55, v197, v55, vcc                      // 000000008824: 006E6FC5
	v_add_u32_e32 v185, 8, v184                                // 000000008828: 69737088
	v_cmp_lt_i32_e32 vcc, v185, v194                           // 00000000882C: 7D8385B9
	s_nop 0                                                    // 000000008830: BF800000
	v_cndmask_b32_e32 v56, v197, v56, vcc                      // 000000008834: 007071C5
	v_add_u32_e32 v185, 9, v184                                // 000000008838: 69737089
	v_cmp_lt_i32_e32 vcc, v185, v194                           // 00000000883C: 7D8385B9
	s_nop 0                                                    // 000000008840: BF800000
	v_cndmask_b32_e32 v57, v197, v57, vcc                      // 000000008844: 007273C5
	v_add_u32_e32 v185, 10, v184                               // 000000008848: 6973708A
	v_cmp_lt_i32_e32 vcc, v185, v194                           // 00000000884C: 7D8385B9
	s_nop 0                                                    // 000000008850: BF800000
	v_cndmask_b32_e32 v58, v197, v58, vcc                      // 000000008854: 007475C5
	v_add_u32_e32 v185, 11, v184                               // 000000008858: 6973708B
	v_cmp_lt_i32_e32 vcc, v185, v194                           // 00000000885C: 7D8385B9
	s_nop 0                                                    // 000000008860: BF800000
	v_cndmask_b32_e32 v59, v197, v59, vcc                      // 000000008864: 007677C5
	v_add_u32_e32 v185, 16, v184                               // 000000008868: 69737090
	v_cmp_lt_i32_e32 vcc, v185, v194                           // 00000000886C: 7D8385B9
	s_nop 0                                                    // 000000008870: BF800000
	v_cndmask_b32_e32 v60, v197, v60, vcc                      // 000000008874: 007879C5
	v_add_u32_e32 v185, 17, v184                               // 000000008878: 69737091
	v_cmp_lt_i32_e32 vcc, v185, v194                           // 00000000887C: 7D8385B9
	s_nop 0                                                    // 000000008880: BF800000
	v_cndmask_b32_e32 v61, v197, v61, vcc                      // 000000008884: 007A7BC5
	v_add_u32_e32 v185, 18, v184                               // 000000008888: 69737092
	v_cmp_lt_i32_e32 vcc, v185, v194                           // 00000000888C: 7D8385B9
	s_nop 0                                                    // 000000008890: BF800000
	v_cndmask_b32_e32 v62, v197, v62, vcc                      // 000000008894: 007C7DC5
	v_add_u32_e32 v185, 19, v184                               // 000000008898: 69737093
	v_cmp_lt_i32_e32 vcc, v185, v194                           // 00000000889C: 7D8385B9
	s_nop 0                                                    // 0000000088A0: BF800000
	v_cndmask_b32_e32 v63, v197, v63, vcc                      // 0000000088A4: 007E7FC5
	v_add_u32_e32 v185, 24, v184                               // 0000000088A8: 69737098
	v_cmp_lt_i32_e32 vcc, v185, v194                           // 0000000088AC: 7D8385B9
	s_nop 0                                                    // 0000000088B0: BF800000
	v_cndmask_b32_e32 v64, v197, v64, vcc                      // 0000000088B4: 008081C5
	v_add_u32_e32 v185, 25, v184                               // 0000000088B8: 69737099
	v_cmp_lt_i32_e32 vcc, v185, v194                           // 0000000088BC: 7D8385B9
	s_nop 0                                                    // 0000000088C0: BF800000
	v_cndmask_b32_e32 v65, v197, v65, vcc                      // 0000000088C4: 008283C5
	v_add_u32_e32 v185, 26, v184                               // 0000000088C8: 6973709A
	v_cmp_lt_i32_e32 vcc, v185, v194                           // 0000000088CC: 7D8385B9
	s_nop 0                                                    // 0000000088D0: BF800000
	v_cndmask_b32_e32 v66, v197, v66, vcc                      // 0000000088D4: 008485C5
	v_add_u32_e32 v185, 27, v184                               // 0000000088D8: 6973709B
	v_cmp_lt_i32_e32 vcc, v185, v194                           // 0000000088DC: 7D8385B9
	s_nop 0                                                    // 0000000088E0: BF800000
	v_cndmask_b32_e32 v67, v197, v67, vcc                      // 0000000088E4: 008687C5
	v_add_u32_e32 v185, 32, v184                               // 0000000088E8: 697370A0
	v_cmp_lt_i32_e32 vcc, v185, v194                           // 0000000088EC: 7D8385B9
	s_nop 0                                                    // 0000000088F0: BF800000
	v_cndmask_b32_e32 v68, v197, v68, vcc                      // 0000000088F4: 008889C5
	v_add_u32_e32 v185, 33, v184                               // 0000000088F8: 697370A1
	v_cmp_lt_i32_e32 vcc, v185, v194                           // 0000000088FC: 7D8385B9
	s_nop 0                                                    // 000000008900: BF800000
	v_cndmask_b32_e32 v69, v197, v69, vcc                      // 000000008904: 008A8BC5
	v_add_u32_e32 v185, 34, v184                               // 000000008908: 697370A2
	v_cmp_lt_i32_e32 vcc, v185, v194                           // 00000000890C: 7D8385B9
	s_nop 0                                                    // 000000008910: BF800000
	v_cndmask_b32_e32 v70, v197, v70, vcc                      // 000000008914: 008C8DC5
	v_add_u32_e32 v185, 35, v184                               // 000000008918: 697370A3
	v_cmp_lt_i32_e32 vcc, v185, v194                           // 00000000891C: 7D8385B9
	s_nop 0                                                    // 000000008920: BF800000
	v_cndmask_b32_e32 v71, v197, v71, vcc                      // 000000008924: 008E8FC5
	v_add_u32_e32 v185, 40, v184                               // 000000008928: 697370A8
	v_cmp_lt_i32_e32 vcc, v185, v194                           // 00000000892C: 7D8385B9
	s_nop 0                                                    // 000000008930: BF800000
	v_cndmask_b32_e32 v72, v197, v72, vcc                      // 000000008934: 009091C5
	v_add_u32_e32 v185, 41, v184                               // 000000008938: 697370A9
	v_cmp_lt_i32_e32 vcc, v185, v194                           // 00000000893C: 7D8385B9
	s_nop 0                                                    // 000000008940: BF800000
	v_cndmask_b32_e32 v73, v197, v73, vcc                      // 000000008944: 009293C5
	v_add_u32_e32 v185, 42, v184                               // 000000008948: 697370AA
	v_cmp_lt_i32_e32 vcc, v185, v194                           // 00000000894C: 7D8385B9
	s_nop 0                                                    // 000000008950: BF800000
	v_cndmask_b32_e32 v74, v197, v74, vcc                      // 000000008954: 009495C5
	v_add_u32_e32 v185, 43, v184                               // 000000008958: 697370AB
	v_cmp_lt_i32_e32 vcc, v185, v194                           // 00000000895C: 7D8385B9
	s_nop 0                                                    // 000000008960: BF800000
	v_cndmask_b32_e32 v75, v197, v75, vcc                      // 000000008964: 009697C5
	v_add_u32_e32 v185, 48, v184                               // 000000008968: 697370B0
	v_cmp_lt_i32_e32 vcc, v185, v194                           // 00000000896C: 7D8385B9
	s_nop 0                                                    // 000000008970: BF800000
	v_cndmask_b32_e32 v76, v197, v76, vcc                      // 000000008974: 009899C5
	v_add_u32_e32 v185, 49, v184                               // 000000008978: 697370B1
	v_cmp_lt_i32_e32 vcc, v185, v194                           // 00000000897C: 7D8385B9
	s_nop 0                                                    // 000000008980: BF800000
	v_cndmask_b32_e32 v77, v197, v77, vcc                      // 000000008984: 009A9BC5
	v_add_u32_e32 v185, 50, v184                               // 000000008988: 697370B2
	v_cmp_lt_i32_e32 vcc, v185, v194                           // 00000000898C: 7D8385B9
	s_nop 0                                                    // 000000008990: BF800000
	v_cndmask_b32_e32 v78, v197, v78, vcc                      // 000000008994: 009C9DC5
	v_add_u32_e32 v185, 51, v184                               // 000000008998: 697370B3
	v_cmp_lt_i32_e32 vcc, v185, v194                           // 00000000899C: 7D8385B9
	s_nop 0                                                    // 0000000089A0: BF800000
	v_cndmask_b32_e32 v79, v197, v79, vcc                      // 0000000089A4: 009E9FC5
	v_add_u32_e32 v185, 56, v184                               // 0000000089A8: 697370B8
	v_cmp_lt_i32_e32 vcc, v185, v194                           // 0000000089AC: 7D8385B9
	s_nop 0                                                    // 0000000089B0: BF800000
	v_cndmask_b32_e32 v80, v197, v80, vcc                      // 0000000089B4: 00A0A1C5
	v_add_u32_e32 v185, 57, v184                               // 0000000089B8: 697370B9
	v_cmp_lt_i32_e32 vcc, v185, v194                           // 0000000089BC: 7D8385B9
	s_nop 0                                                    // 0000000089C0: BF800000
	v_cndmask_b32_e32 v81, v197, v81, vcc                      // 0000000089C4: 00A2A3C5
	v_add_u32_e32 v185, 58, v184                               // 0000000089C8: 697370BA
	v_cmp_lt_i32_e32 vcc, v185, v194                           // 0000000089CC: 7D8385B9
	s_nop 0                                                    // 0000000089D0: BF800000
	v_cndmask_b32_e32 v82, v197, v82, vcc                      // 0000000089D4: 00A4A5C5
	v_add_u32_e32 v185, 59, v184                               // 0000000089D8: 697370BB
	v_cmp_lt_i32_e32 vcc, v185, v194                           // 0000000089DC: 7D8385B9
	s_nop 0                                                    // 0000000089E0: BF800000
	v_cndmask_b32_e32 v83, v197, v83, vcc                      // 0000000089E4: 00A6A7C5
	v_add_u32_e32 v185, 64, v184                               // 0000000089E8: 697370C0
	v_cmp_lt_i32_e32 vcc, v185, v194                           // 0000000089EC: 7D8385B9
	s_nop 0                                                    // 0000000089F0: BF800000
	v_cndmask_b32_e32 v84, v197, v84, vcc                      // 0000000089F4: 00A8A9C5
	v_add_u32_e32 v185, 0x41, v184                             // 0000000089F8: 697370FF 00000041
	v_cmp_lt_i32_e32 vcc, v185, v194                           // 000000008A00: 7D8385B9
	s_nop 0                                                    // 000000008A04: BF800000
	v_cndmask_b32_e32 v85, v197, v85, vcc                      // 000000008A08: 00AAABC5
	v_add_u32_e32 v185, 0x42, v184                             // 000000008A0C: 697370FF 00000042
	v_cmp_lt_i32_e32 vcc, v185, v194                           // 000000008A14: 7D8385B9
	s_nop 0                                                    // 000000008A18: BF800000
	v_cndmask_b32_e32 v86, v197, v86, vcc                      // 000000008A1C: 00ACADC5
	v_add_u32_e32 v185, 0x43, v184                             // 000000008A20: 697370FF 00000043
	v_cmp_lt_i32_e32 vcc, v185, v194                           // 000000008A28: 7D8385B9
	s_nop 0                                                    // 000000008A2C: BF800000
	v_cndmask_b32_e32 v87, v197, v87, vcc                      // 000000008A30: 00AEAFC5
	v_add_u32_e32 v185, 0x48, v184                             // 000000008A34: 697370FF 00000048
	v_cmp_lt_i32_e32 vcc, v185, v194                           // 000000008A3C: 7D8385B9
	s_nop 0                                                    // 000000008A40: BF800000
	v_cndmask_b32_e32 v88, v197, v88, vcc                      // 000000008A44: 00B0B1C5
	v_add_u32_e32 v185, 0x49, v184                             // 000000008A48: 697370FF 00000049
	v_cmp_lt_i32_e32 vcc, v185, v194                           // 000000008A50: 7D8385B9
	s_nop 0                                                    // 000000008A54: BF800000
	v_cndmask_b32_e32 v89, v197, v89, vcc                      // 000000008A58: 00B2B3C5
	v_add_u32_e32 v185, 0x4a, v184                             // 000000008A5C: 697370FF 0000004A
	v_cmp_lt_i32_e32 vcc, v185, v194                           // 000000008A64: 7D8385B9
	s_nop 0                                                    // 000000008A68: BF800000
	v_cndmask_b32_e32 v90, v197, v90, vcc                      // 000000008A6C: 00B4B5C5
	v_add_u32_e32 v185, 0x4b, v184                             // 000000008A70: 697370FF 0000004B
	v_cmp_lt_i32_e32 vcc, v185, v194                           // 000000008A78: 7D8385B9
	s_nop 0                                                    // 000000008A7C: BF800000
	v_cndmask_b32_e32 v91, v197, v91, vcc                      // 000000008A80: 00B6B7C5
	v_add_u32_e32 v185, 0x50, v184                             // 000000008A84: 697370FF 00000050
	v_cmp_lt_i32_e32 vcc, v185, v194                           // 000000008A8C: 7D8385B9
	s_nop 0                                                    // 000000008A90: BF800000
	v_cndmask_b32_e32 v92, v197, v92, vcc                      // 000000008A94: 00B8B9C5
	v_add_u32_e32 v185, 0x51, v184                             // 000000008A98: 697370FF 00000051
	v_cmp_lt_i32_e32 vcc, v185, v194                           // 000000008AA0: 7D8385B9
	s_nop 0                                                    // 000000008AA4: BF800000
	v_cndmask_b32_e32 v93, v197, v93, vcc                      // 000000008AA8: 00BABBC5
	v_add_u32_e32 v185, 0x52, v184                             // 000000008AAC: 697370FF 00000052
	v_cmp_lt_i32_e32 vcc, v185, v194                           // 000000008AB4: 7D8385B9
	s_nop 0                                                    // 000000008AB8: BF800000
	v_cndmask_b32_e32 v94, v197, v94, vcc                      // 000000008ABC: 00BCBDC5
	v_add_u32_e32 v185, 0x53, v184                             // 000000008AC0: 697370FF 00000053
	v_cmp_lt_i32_e32 vcc, v185, v194                           // 000000008AC8: 7D8385B9
	s_nop 0                                                    // 000000008ACC: BF800000
	v_cndmask_b32_e32 v95, v197, v95, vcc                      // 000000008AD0: 00BEBFC5
	v_add_u32_e32 v185, 0x58, v184                             // 000000008AD4: 697370FF 00000058
	v_cmp_lt_i32_e32 vcc, v185, v194                           // 000000008ADC: 7D8385B9
	s_nop 0                                                    // 000000008AE0: BF800000
	v_cndmask_b32_e32 v96, v197, v96, vcc                      // 000000008AE4: 00C0C1C5
	v_add_u32_e32 v185, 0x59, v184                             // 000000008AE8: 697370FF 00000059
	v_cmp_lt_i32_e32 vcc, v185, v194                           // 000000008AF0: 7D8385B9
	s_nop 0                                                    // 000000008AF4: BF800000
	v_cndmask_b32_e32 v97, v197, v97, vcc                      // 000000008AF8: 00C2C3C5
	v_add_u32_e32 v185, 0x5a, v184                             // 000000008AFC: 697370FF 0000005A
	v_cmp_lt_i32_e32 vcc, v185, v194                           // 000000008B04: 7D8385B9
	s_nop 0                                                    // 000000008B08: BF800000
	v_cndmask_b32_e32 v98, v197, v98, vcc                      // 000000008B0C: 00C4C5C5
	v_add_u32_e32 v185, 0x5b, v184                             // 000000008B10: 697370FF 0000005B
	v_cmp_lt_i32_e32 vcc, v185, v194                           // 000000008B18: 7D8385B9
	s_nop 0                                                    // 000000008B1C: BF800000
	v_cndmask_b32_e32 v99, v197, v99, vcc                      // 000000008B20: 00C6C7C5
	v_add_u32_e32 v185, 0x60, v184                             // 000000008B24: 697370FF 00000060
	v_cmp_lt_i32_e32 vcc, v185, v194                           // 000000008B2C: 7D8385B9
	s_nop 0                                                    // 000000008B30: BF800000
	v_cndmask_b32_e32 v100, v197, v100, vcc                    // 000000008B34: 00C8C9C5
	v_add_u32_e32 v185, 0x61, v184                             // 000000008B38: 697370FF 00000061
	v_cmp_lt_i32_e32 vcc, v185, v194                           // 000000008B40: 7D8385B9
	s_nop 0                                                    // 000000008B44: BF800000
	v_cndmask_b32_e32 v101, v197, v101, vcc                    // 000000008B48: 00CACBC5
	v_add_u32_e32 v185, 0x62, v184                             // 000000008B4C: 697370FF 00000062
	v_cmp_lt_i32_e32 vcc, v185, v194                           // 000000008B54: 7D8385B9
	s_nop 0                                                    // 000000008B58: BF800000
	v_cndmask_b32_e32 v102, v197, v102, vcc                    // 000000008B5C: 00CCCDC5
	v_add_u32_e32 v185, 0x63, v184                             // 000000008B60: 697370FF 00000063
	v_cmp_lt_i32_e32 vcc, v185, v194                           // 000000008B68: 7D8385B9
	s_nop 0                                                    // 000000008B6C: BF800000
	v_cndmask_b32_e32 v103, v197, v103, vcc                    // 000000008B70: 00CECFC5
	v_add_u32_e32 v185, 0x68, v184                             // 000000008B74: 697370FF 00000068
	v_cmp_lt_i32_e32 vcc, v185, v194                           // 000000008B7C: 7D8385B9
	s_nop 0                                                    // 000000008B80: BF800000
	v_cndmask_b32_e32 v104, v197, v104, vcc                    // 000000008B84: 00D0D1C5
	v_add_u32_e32 v185, 0x69, v184                             // 000000008B88: 697370FF 00000069
	v_cmp_lt_i32_e32 vcc, v185, v194                           // 000000008B90: 7D8385B9
	s_nop 0                                                    // 000000008B94: BF800000
	v_cndmask_b32_e32 v105, v197, v105, vcc                    // 000000008B98: 00D2D3C5
	v_add_u32_e32 v185, 0x6a, v184                             // 000000008B9C: 697370FF 0000006A
	v_cmp_lt_i32_e32 vcc, v185, v194                           // 000000008BA4: 7D8385B9
	s_nop 0                                                    // 000000008BA8: BF800000
	v_cndmask_b32_e32 v106, v197, v106, vcc                    // 000000008BAC: 00D4D5C5
	v_add_u32_e32 v185, 0x6b, v184                             // 000000008BB0: 697370FF 0000006B
	v_cmp_lt_i32_e32 vcc, v185, v194                           // 000000008BB8: 7D8385B9
	s_nop 0                                                    // 000000008BBC: BF800000
	v_cndmask_b32_e32 v107, v197, v107, vcc                    // 000000008BC0: 00D6D7C5
	v_add_u32_e32 v185, 0x70, v184                             // 000000008BC4: 697370FF 00000070
	v_cmp_lt_i32_e32 vcc, v185, v194                           // 000000008BCC: 7D8385B9
	s_nop 0                                                    // 000000008BD0: BF800000
	v_cndmask_b32_e32 v108, v197, v108, vcc                    // 000000008BD4: 00D8D9C5
	v_add_u32_e32 v185, 0x71, v184                             // 000000008BD8: 697370FF 00000071
	v_cmp_lt_i32_e32 vcc, v185, v194                           // 000000008BE0: 7D8385B9
	s_nop 0                                                    // 000000008BE4: BF800000
	v_cndmask_b32_e32 v109, v197, v109, vcc                    // 000000008BE8: 00DADBC5
	v_add_u32_e32 v185, 0x72, v184                             // 000000008BEC: 697370FF 00000072
	v_cmp_lt_i32_e32 vcc, v185, v194                           // 000000008BF4: 7D8385B9
	s_nop 0                                                    // 000000008BF8: BF800000
	v_cndmask_b32_e32 v110, v197, v110, vcc                    // 000000008BFC: 00DCDDC5
	v_add_u32_e32 v185, 0x73, v184                             // 000000008C00: 697370FF 00000073
	v_cmp_lt_i32_e32 vcc, v185, v194                           // 000000008C08: 7D8385B9
	s_nop 0                                                    // 000000008C0C: BF800000
	v_cndmask_b32_e32 v111, v197, v111, vcc                    // 000000008C10: 00DEDFC5
	v_add_u32_e32 v185, 0x78, v184                             // 000000008C14: 697370FF 00000078
	v_cmp_lt_i32_e32 vcc, v185, v194                           // 000000008C1C: 7D8385B9
	s_nop 0                                                    // 000000008C20: BF800000
	v_cndmask_b32_e32 v112, v197, v112, vcc                    // 000000008C24: 00E0E1C5
	v_add_u32_e32 v185, 0x79, v184                             // 000000008C28: 697370FF 00000079
	v_cmp_lt_i32_e32 vcc, v185, v194                           // 000000008C30: 7D8385B9
	s_nop 0                                                    // 000000008C34: BF800000
	v_cndmask_b32_e32 v113, v197, v113, vcc                    // 000000008C38: 00E2E3C5
	v_add_u32_e32 v185, 0x7a, v184                             // 000000008C3C: 697370FF 0000007A
	v_cmp_lt_i32_e32 vcc, v185, v194                           // 000000008C44: 7D8385B9
	s_nop 0                                                    // 000000008C48: BF800000
	v_cndmask_b32_e32 v114, v197, v114, vcc                    // 000000008C4C: 00E4E5C5
	v_add_u32_e32 v185, 0x7b, v184                             // 000000008C50: 697370FF 0000007B
	v_cmp_lt_i32_e32 vcc, v185, v194                           // 000000008C58: 7D8385B9
	s_nop 0                                                    // 000000008C5C: BF800000
	v_cndmask_b32_e32 v115, v197, v115, vcc                    // 000000008C60: 00E6E7C5
	v_mov_b32_e32 v193, v192                                   // 000000008C64: 7F8203C0
	v_max3_f32 v193, v52, v53, v193                            // 000000008C68: D1D300C1 07066B34
	v_max3_f32 v193, v54, v55, v193                            // 000000008C70: D1D300C1 07066F36
	v_max3_f32 v193, v56, v57, v193                            // 000000008C78: D1D300C1 07067338
	v_max3_f32 v193, v58, v59, v193                            // 000000008C80: D1D300C1 0706773A
	v_max3_f32 v193, v60, v61, v193                            // 000000008C88: D1D300C1 07067B3C
	v_max3_f32 v193, v62, v63, v193                            // 000000008C90: D1D300C1 07067F3E
	v_max3_f32 v193, v64, v65, v193                            // 000000008C98: D1D300C1 07068340
	v_max3_f32 v193, v66, v67, v193                            // 000000008CA0: D1D300C1 07068742
	v_max3_f32 v193, v68, v69, v193                            // 000000008CA8: D1D300C1 07068B44
	v_max3_f32 v193, v70, v71, v193                            // 000000008CB0: D1D300C1 07068F46
	v_max3_f32 v193, v72, v73, v193                            // 000000008CB8: D1D300C1 07069348
	v_max3_f32 v193, v74, v75, v193                            // 000000008CC0: D1D300C1 0706974A
	v_max3_f32 v193, v76, v77, v193                            // 000000008CC8: D1D300C1 07069B4C
	v_max3_f32 v193, v78, v79, v193                            // 000000008CD0: D1D300C1 07069F4E
	v_max3_f32 v193, v80, v81, v193                            // 000000008CD8: D1D300C1 0706A350
	v_max3_f32 v193, v82, v83, v193                            // 000000008CE0: D1D300C1 0706A752
	v_max3_f32 v193, v84, v85, v193                            // 000000008CE8: D1D300C1 0706AB54
	v_max3_f32 v193, v86, v87, v193                            // 000000008CF0: D1D300C1 0706AF56
	v_max3_f32 v193, v88, v89, v193                            // 000000008CF8: D1D300C1 0706B358
	v_max3_f32 v193, v90, v91, v193                            // 000000008D00: D1D300C1 0706B75A
	v_max3_f32 v193, v92, v93, v193                            // 000000008D08: D1D300C1 0706BB5C
	v_max3_f32 v193, v94, v95, v193                            // 000000008D10: D1D300C1 0706BF5E
	v_max3_f32 v193, v96, v97, v193                            // 000000008D18: D1D300C1 0706C360
	v_max3_f32 v193, v98, v99, v193                            // 000000008D20: D1D300C1 0706C762
	v_max3_f32 v193, v100, v101, v193                          // 000000008D28: D1D300C1 0706CB64
	v_max3_f32 v193, v102, v103, v193                          // 000000008D30: D1D300C1 0706CF66
	v_max3_f32 v193, v104, v105, v193                          // 000000008D38: D1D300C1 0706D368
	v_max3_f32 v193, v106, v107, v193                          // 000000008D40: D1D300C1 0706D76A
	v_max3_f32 v193, v108, v109, v193                          // 000000008D48: D1D300C1 0706DB6C
	v_max3_f32 v193, v110, v111, v193                          // 000000008D50: D1D300C1 0706DF6E
	v_max3_f32 v193, v112, v113, v193                          // 000000008D58: D1D300C1 0706E370
	v_max3_f32 v193, v114, v115, v193                          // 000000008D60: D1D300C1 0706E772
	v_mov_b32_e32 v184, v193                                   // 000000008D68: 7F7003C1
	s_nop 1                                                    // 000000008D6C: BF800001
	s_nop 0                                                    // 000000008D70: BF800000
	v_permlane32_swap_b32_e32 v184, v193                       // 000000008D74: 7F70B5C1
	v_max_f32_e32 v193, v193, v184                             // 000000008D78: 178371C1
	v_cmp_eq_u32_e64 s[66:67], v197, v193                      // 000000008D7C: D0CA0042 000383C5
	s_nop 0                                                    // 000000008D84: BF800000
	v_cndmask_b32_e64 v193, v193, 0, s[66:67]                  // 000000008D88: D10000C1 010901C1
	v_mul_f32_e64 v184, -s26, v193                             // 000000008D90: D10500B8 2003821A
	v_mov_b32_e32 v185, v184                                   // 000000008D98: 7F7203B8
	v_pk_fma_f32 v[52:53], v[52:53], s[26:27], v[184:185]      // 000000008D9C: D3B04034 1EE03534
	v_pk_fma_f32 v[54:55], v[54:55], s[26:27], v[184:185]      // 000000008DA4: D3B04036 1EE03536
	v_pk_fma_f32 v[56:57], v[56:57], s[26:27], v[184:185]      // 000000008DAC: D3B04038 1EE03538
	v_pk_fma_f32 v[58:59], v[58:59], s[26:27], v[184:185]      // 000000008DB4: D3B0403A 1EE0353A
	v_pk_fma_f32 v[60:61], v[60:61], s[26:27], v[184:185]      // 000000008DBC: D3B0403C 1EE0353C
	v_pk_fma_f32 v[62:63], v[62:63], s[26:27], v[184:185]      // 000000008DC4: D3B0403E 1EE0353E
	v_pk_fma_f32 v[64:65], v[64:65], s[26:27], v[184:185]      // 000000008DCC: D3B04040 1EE03540
	v_pk_fma_f32 v[66:67], v[66:67], s[26:27], v[184:185]      // 000000008DD4: D3B04042 1EE03542
	v_pk_fma_f32 v[68:69], v[68:69], s[26:27], v[184:185]      // 000000008DDC: D3B04044 1EE03544
	v_pk_fma_f32 v[70:71], v[70:71], s[26:27], v[184:185]      // 000000008DE4: D3B04046 1EE03546
	v_pk_fma_f32 v[72:73], v[72:73], s[26:27], v[184:185]      // 000000008DEC: D3B04048 1EE03548
	v_pk_fma_f32 v[74:75], v[74:75], s[26:27], v[184:185]      // 000000008DF4: D3B0404A 1EE0354A
	v_pk_fma_f32 v[76:77], v[76:77], s[26:27], v[184:185]      // 000000008DFC: D3B0404C 1EE0354C
	v_pk_fma_f32 v[78:79], v[78:79], s[26:27], v[184:185]      // 000000008E04: D3B0404E 1EE0354E
	v_pk_fma_f32 v[80:81], v[80:81], s[26:27], v[184:185]      // 000000008E0C: D3B04050 1EE03550
	v_pk_fma_f32 v[82:83], v[82:83], s[26:27], v[184:185]      // 000000008E14: D3B04052 1EE03552
	v_pk_fma_f32 v[84:85], v[84:85], s[26:27], v[184:185]      // 000000008E1C: D3B04054 1EE03554
	v_pk_fma_f32 v[86:87], v[86:87], s[26:27], v[184:185]      // 000000008E24: D3B04056 1EE03556
	v_pk_fma_f32 v[88:89], v[88:89], s[26:27], v[184:185]      // 000000008E2C: D3B04058 1EE03558
	v_pk_fma_f32 v[90:91], v[90:91], s[26:27], v[184:185]      // 000000008E34: D3B0405A 1EE0355A
	v_pk_fma_f32 v[92:93], v[92:93], s[26:27], v[184:185]      // 000000008E3C: D3B0405C 1EE0355C
	v_pk_fma_f32 v[94:95], v[94:95], s[26:27], v[184:185]      // 000000008E44: D3B0405E 1EE0355E
	v_pk_fma_f32 v[96:97], v[96:97], s[26:27], v[184:185]      // 000000008E4C: D3B04060 1EE03560
	v_pk_fma_f32 v[98:99], v[98:99], s[26:27], v[184:185]      // 000000008E54: D3B04062 1EE03562
	v_pk_fma_f32 v[100:101], v[100:101], s[26:27], v[184:185]  // 000000008E5C: D3B04064 1EE03564
	v_pk_fma_f32 v[102:103], v[102:103], s[26:27], v[184:185]  // 000000008E64: D3B04066 1EE03566
	v_pk_fma_f32 v[104:105], v[104:105], s[26:27], v[184:185]  // 000000008E6C: D3B04068 1EE03568
	v_pk_fma_f32 v[106:107], v[106:107], s[26:27], v[184:185]  // 000000008E74: D3B0406A 1EE0356A
	v_pk_fma_f32 v[108:109], v[108:109], s[26:27], v[184:185]  // 000000008E7C: D3B0406C 1EE0356C
	v_pk_fma_f32 v[110:111], v[110:111], s[26:27], v[184:185]  // 000000008E84: D3B0406E 1EE0356E
	v_pk_fma_f32 v[112:113], v[112:113], s[26:27], v[184:185]  // 000000008E8C: D3B04070 1EE03570
	v_pk_fma_f32 v[114:115], v[114:115], s[26:27], v[184:185]  // 000000008E94: D3B04072 1EE03572
	s_barrier                                                  // 000000008E9C: BF8A0000
	v_exp_f32_e32 v52, v52                                     // 000000008EA0: 7E684134
	v_exp_f32_e32 v53, v53                                     // 000000008EA4: 7E6A4135
	v_exp_f32_e32 v54, v54                                     // 000000008EA8: 7E6C4136
	v_exp_f32_e32 v55, v55                                     // 000000008EAC: 7E6E4137
	v_exp_f32_e32 v56, v56                                     // 000000008EB0: 7E704138
	v_exp_f32_e32 v57, v57                                     // 000000008EB4: 7E724139
	v_exp_f32_e32 v58, v58                                     // 000000008EB8: 7E74413A
	v_exp_f32_e32 v59, v59                                     // 000000008EBC: 7E76413B
	v_exp_f32_e32 v60, v60                                     // 000000008EC0: 7E78413C
	v_exp_f32_e32 v61, v61                                     // 000000008EC4: 7E7A413D
	v_exp_f32_e32 v62, v62                                     // 000000008EC8: 7E7C413E
	v_exp_f32_e32 v63, v63                                     // 000000008ECC: 7E7E413F
	v_exp_f32_e32 v64, v64                                     // 000000008ED0: 7E804140
	v_exp_f32_e32 v65, v65                                     // 000000008ED4: 7E824141
	v_exp_f32_e32 v66, v66                                     // 000000008ED8: 7E844142
	v_exp_f32_e32 v67, v67                                     // 000000008EDC: 7E864143
	v_exp_f32_e32 v68, v68                                     // 000000008EE0: 7E884144
	v_exp_f32_e32 v69, v69                                     // 000000008EE4: 7E8A4145
	v_exp_f32_e32 v70, v70                                     // 000000008EE8: 7E8C4146
	v_exp_f32_e32 v71, v71                                     // 000000008EEC: 7E8E4147
	v_exp_f32_e32 v72, v72                                     // 000000008EF0: 7E904148
	v_exp_f32_e32 v73, v73                                     // 000000008EF4: 7E924149
	v_exp_f32_e32 v74, v74                                     // 000000008EF8: 7E94414A
	v_exp_f32_e32 v75, v75                                     // 000000008EFC: 7E96414B
	v_exp_f32_e32 v76, v76                                     // 000000008F00: 7E98414C
	v_exp_f32_e32 v77, v77                                     // 000000008F04: 7E9A414D
	v_exp_f32_e32 v78, v78                                     // 000000008F08: 7E9C414E
	v_exp_f32_e32 v79, v79                                     // 000000008F0C: 7E9E414F
	v_exp_f32_e32 v80, v80                                     // 000000008F10: 7EA04150
	v_exp_f32_e32 v81, v81                                     // 000000008F14: 7EA24151
	v_exp_f32_e32 v82, v82                                     // 000000008F18: 7EA44152
	v_exp_f32_e32 v83, v83                                     // 000000008F1C: 7EA64153
	v_exp_f32_e32 v84, v84                                     // 000000008F20: 7EA84154
	v_exp_f32_e32 v85, v85                                     // 000000008F24: 7EAA4155
	v_exp_f32_e32 v86, v86                                     // 000000008F28: 7EAC4156
	v_exp_f32_e32 v87, v87                                     // 000000008F2C: 7EAE4157
	v_exp_f32_e32 v88, v88                                     // 000000008F30: 7EB04158
	v_exp_f32_e32 v89, v89                                     // 000000008F34: 7EB24159
	v_exp_f32_e32 v90, v90                                     // 000000008F38: 7EB4415A
	v_exp_f32_e32 v91, v91                                     // 000000008F3C: 7EB6415B
	v_exp_f32_e32 v92, v92                                     // 000000008F40: 7EB8415C
	v_exp_f32_e32 v93, v93                                     // 000000008F44: 7EBA415D
	v_exp_f32_e32 v94, v94                                     // 000000008F48: 7EBC415E
	v_exp_f32_e32 v95, v95                                     // 000000008F4C: 7EBE415F
	v_exp_f32_e32 v96, v96                                     // 000000008F50: 7EC04160
	v_exp_f32_e32 v97, v97                                     // 000000008F54: 7EC24161
	v_exp_f32_e32 v98, v98                                     // 000000008F58: 7EC44162
	v_exp_f32_e32 v99, v99                                     // 000000008F5C: 7EC64163
	v_exp_f32_e32 v100, v100                                   // 000000008F60: 7EC84164
	v_exp_f32_e32 v101, v101                                   // 000000008F64: 7ECA4165
	v_exp_f32_e32 v102, v102                                   // 000000008F68: 7ECC4166
	v_exp_f32_e32 v103, v103                                   // 000000008F6C: 7ECE4167
	v_exp_f32_e32 v104, v104                                   // 000000008F70: 7ED04168
	v_exp_f32_e32 v105, v105                                   // 000000008F74: 7ED24169
	v_exp_f32_e32 v106, v106                                   // 000000008F78: 7ED4416A
	v_exp_f32_e32 v107, v107                                   // 000000008F7C: 7ED6416B
	v_exp_f32_e32 v108, v108                                   // 000000008F80: 7ED8416C
	v_exp_f32_e32 v109, v109                                   // 000000008F84: 7EDA416D
	v_exp_f32_e32 v110, v110                                   // 000000008F88: 7EDC416E
	v_exp_f32_e32 v111, v111                                   // 000000008F8C: 7EDE416F
	v_exp_f32_e32 v112, v112                                   // 000000008F90: 7EE04170
	v_exp_f32_e32 v113, v113                                   // 000000008F94: 7EE24171
	v_exp_f32_e32 v114, v114                                   // 000000008F98: 7EE44172
	v_exp_f32_e32 v115, v115                                   // 000000008F9C: 7EE64173
	v_sub_f32_e32 v188, v192, v193                             // 000000008FA0: 057983C0
	v_cmp_eq_u32_e64 s[66:67], v197, v192                      // 000000008FA4: D0CA0042 000381C5
	s_nop 0                                                    // 000000008FAC: BF800000
	v_cndmask_b32_e64 v188, v188, 0, s[66:67]                  // 000000008FB0: D10000BC 010901BC
	v_mov_b32_e32 v192, v193                                   // 000000008FB8: 7F8003C1
	v_mul_f32_e32 v188, s26, v188                              // 000000008FBC: 0B79781A
	v_exp_f32_e32 v188, v188                                   // 000000008FC0: 7F7841BC
	s_nop 0                                                    // 000000008FC4: BF800000
	v_mul_f32_e32 v190, v188, v190                             // 000000008FC8: 0B7D7DBC
	v_add_f32_e32 v190, v52, v190                              // 000000008FCC: 037D7D34
	v_add_f32_e32 v190, v53, v190                              // 000000008FD0: 037D7D35
	v_add_f32_e32 v190, v54, v190                              // 000000008FD4: 037D7D36
	v_add_f32_e32 v190, v55, v190                              // 000000008FD8: 037D7D37
	v_add_f32_e32 v190, v56, v190                              // 000000008FDC: 037D7D38
	v_add_f32_e32 v190, v57, v190                              // 000000008FE0: 037D7D39
	v_add_f32_e32 v190, v58, v190                              // 000000008FE4: 037D7D3A
	v_add_f32_e32 v190, v59, v190                              // 000000008FE8: 037D7D3B
	v_add_f32_e32 v190, v60, v190                              // 000000008FEC: 037D7D3C
	v_add_f32_e32 v190, v61, v190                              // 000000008FF0: 037D7D3D
	v_add_f32_e32 v190, v62, v190                              // 000000008FF4: 037D7D3E
	v_add_f32_e32 v190, v63, v190                              // 000000008FF8: 037D7D3F
	v_add_f32_e32 v190, v64, v190                              // 000000008FFC: 037D7D40
	v_add_f32_e32 v190, v65, v190                              // 000000009000: 037D7D41
	v_add_f32_e32 v190, v66, v190                              // 000000009004: 037D7D42
	v_add_f32_e32 v190, v67, v190                              // 000000009008: 037D7D43
	v_add_f32_e32 v190, v68, v190                              // 00000000900C: 037D7D44
	v_add_f32_e32 v190, v69, v190                              // 000000009010: 037D7D45
	v_add_f32_e32 v190, v70, v190                              // 000000009014: 037D7D46
	v_add_f32_e32 v190, v71, v190                              // 000000009018: 037D7D47
	v_add_f32_e32 v190, v72, v190                              // 00000000901C: 037D7D48
	v_add_f32_e32 v190, v73, v190                              // 000000009020: 037D7D49
	v_add_f32_e32 v190, v74, v190                              // 000000009024: 037D7D4A
	v_add_f32_e32 v190, v75, v190                              // 000000009028: 037D7D4B
	v_add_f32_e32 v190, v76, v190                              // 00000000902C: 037D7D4C
	v_add_f32_e32 v190, v77, v190                              // 000000009030: 037D7D4D
	v_add_f32_e32 v190, v78, v190                              // 000000009034: 037D7D4E
	v_add_f32_e32 v190, v79, v190                              // 000000009038: 037D7D4F
	v_add_f32_e32 v190, v80, v190                              // 00000000903C: 037D7D50
	v_add_f32_e32 v190, v81, v190                              // 000000009040: 037D7D51
	v_add_f32_e32 v190, v82, v190                              // 000000009044: 037D7D52
	v_add_f32_e32 v190, v83, v190                              // 000000009048: 037D7D53
	v_add_f32_e32 v190, v84, v190                              // 00000000904C: 037D7D54
	v_add_f32_e32 v190, v85, v190                              // 000000009050: 037D7D55
	v_add_f32_e32 v190, v86, v190                              // 000000009054: 037D7D56
	v_add_f32_e32 v190, v87, v190                              // 000000009058: 037D7D57
	v_add_f32_e32 v190, v88, v190                              // 00000000905C: 037D7D58
	v_add_f32_e32 v190, v89, v190                              // 000000009060: 037D7D59
	v_add_f32_e32 v190, v90, v190                              // 000000009064: 037D7D5A
	v_add_f32_e32 v190, v91, v190                              // 000000009068: 037D7D5B
	v_add_f32_e32 v190, v92, v190                              // 00000000906C: 037D7D5C
	v_add_f32_e32 v190, v93, v190                              // 000000009070: 037D7D5D
	v_add_f32_e32 v190, v94, v190                              // 000000009074: 037D7D5E
	v_add_f32_e32 v190, v95, v190                              // 000000009078: 037D7D5F
	v_add_f32_e32 v190, v96, v190                              // 00000000907C: 037D7D60
	v_add_f32_e32 v190, v97, v190                              // 000000009080: 037D7D61
	v_add_f32_e32 v190, v98, v190                              // 000000009084: 037D7D62
	v_add_f32_e32 v190, v99, v190                              // 000000009088: 037D7D63
	v_add_f32_e32 v190, v100, v190                             // 00000000908C: 037D7D64
	v_add_f32_e32 v190, v101, v190                             // 000000009090: 037D7D65
	v_add_f32_e32 v190, v102, v190                             // 000000009094: 037D7D66
	v_add_f32_e32 v190, v103, v190                             // 000000009098: 037D7D67
	v_add_f32_e32 v190, v104, v190                             // 00000000909C: 037D7D68
	v_add_f32_e32 v190, v105, v190                             // 0000000090A0: 037D7D69
	v_add_f32_e32 v190, v106, v190                             // 0000000090A4: 037D7D6A
	v_add_f32_e32 v190, v107, v190                             // 0000000090A8: 037D7D6B
	v_add_f32_e32 v190, v108, v190                             // 0000000090AC: 037D7D6C
	v_add_f32_e32 v190, v109, v190                             // 0000000090B0: 037D7D6D
	v_add_f32_e32 v190, v110, v190                             // 0000000090B4: 037D7D6E
	v_add_f32_e32 v190, v111, v190                             // 0000000090B8: 037D7D6F
	v_add_f32_e32 v190, v112, v190                             // 0000000090BC: 037D7D70
	v_add_f32_e32 v190, v113, v190                             // 0000000090C0: 037D7D71
	v_add_f32_e32 v190, v114, v190                             // 0000000090C4: 037D7D72
	v_add_f32_e32 v190, v115, v190                             // 0000000090C8: 037D7D73
	v_mul_f32_e32 v116, v188, v116                             // 0000000090CC: 0AE8E9BC
	v_mul_f32_e32 v117, v188, v117                             // 0000000090D0: 0AEAEBBC
	v_mul_f32_e32 v118, v188, v118                             // 0000000090D4: 0AECEDBC
	v_mul_f32_e32 v119, v188, v119                             // 0000000090D8: 0AEEEFBC
	v_mul_f32_e32 v120, v188, v120                             // 0000000090DC: 0AF0F1BC
	v_mul_f32_e32 v121, v188, v121                             // 0000000090E0: 0AF2F3BC
	v_mul_f32_e32 v122, v188, v122                             // 0000000090E4: 0AF4F5BC
	v_mul_f32_e32 v123, v188, v123                             // 0000000090E8: 0AF6F7BC
	v_mul_f32_e32 v124, v188, v124                             // 0000000090EC: 0AF8F9BC
	v_mul_f32_e32 v125, v188, v125                             // 0000000090F0: 0AFAFBBC
	v_mul_f32_e32 v126, v188, v126                             // 0000000090F4: 0AFCFDBC
	v_mul_f32_e32 v127, v188, v127                             // 0000000090F8: 0AFEFFBC
	v_mul_f32_e32 v128, v188, v128                             // 0000000090FC: 0B0101BC
	v_mul_f32_e32 v129, v188, v129                             // 000000009100: 0B0303BC
	v_mul_f32_e32 v130, v188, v130                             // 000000009104: 0B0505BC
	v_mul_f32_e32 v131, v188, v131                             // 000000009108: 0B0707BC
	v_mul_f32_e32 v132, v188, v132                             // 00000000910C: 0B0909BC
	v_mul_f32_e32 v133, v188, v133                             // 000000009110: 0B0B0BBC
	v_mul_f32_e32 v134, v188, v134                             // 000000009114: 0B0D0DBC
	v_mul_f32_e32 v135, v188, v135                             // 000000009118: 0B0F0FBC
	v_mul_f32_e32 v136, v188, v136                             // 00000000911C: 0B1111BC
	v_mul_f32_e32 v137, v188, v137                             // 000000009120: 0B1313BC
	v_mul_f32_e32 v138, v188, v138                             // 000000009124: 0B1515BC
	v_mul_f32_e32 v139, v188, v139                             // 000000009128: 0B1717BC
	v_mul_f32_e32 v140, v188, v140                             // 00000000912C: 0B1919BC
	s_waitcnt vmcnt(0)                                         // 000000009130: BF8C0F70
	s_barrier                                                  // 000000009134: BF8A0000
	v_mul_f32_e32 v141, v188, v141                             // 000000009138: 0B1B1BBC
	v_mul_f32_e32 v142, v188, v142                             // 00000000913C: 0B1D1DBC
	v_mul_f32_e32 v143, v188, v143                             // 000000009140: 0B1F1FBC
	v_mul_f32_e32 v144, v188, v144                             // 000000009144: 0B2121BC
	v_mul_f32_e32 v145, v188, v145                             // 000000009148: 0B2323BC
	v_mul_f32_e32 v146, v188, v146                             // 00000000914C: 0B2525BC
	v_mul_f32_e32 v147, v188, v147                             // 000000009150: 0B2727BC
	v_mul_f32_e32 v148, v188, v148                             // 000000009154: 0B2929BC
	v_mul_f32_e32 v149, v188, v149                             // 000000009158: 0B2B2BBC
	v_mul_f32_e32 v150, v188, v150                             // 00000000915C: 0B2D2DBC
	v_mul_f32_e32 v151, v188, v151                             // 000000009160: 0B2F2FBC
	v_mul_f32_e32 v152, v188, v152                             // 000000009164: 0B3131BC
	v_mul_f32_e32 v153, v188, v153                             // 000000009168: 0B3333BC
	v_mul_f32_e32 v154, v188, v154                             // 00000000916C: 0B3535BC
	v_mul_f32_e32 v155, v188, v155                             // 000000009170: 0B3737BC
	v_mul_f32_e32 v156, v188, v156                             // 000000009174: 0B3939BC
	v_mul_f32_e32 v157, v188, v157                             // 000000009178: 0B3B3BBC
	v_mul_f32_e32 v158, v188, v158                             // 00000000917C: 0B3D3DBC
	v_mul_f32_e32 v159, v188, v159                             // 000000009180: 0B3F3FBC
	v_mul_f32_e32 v160, v188, v160                             // 000000009184: 0B4141BC
	v_mul_f32_e32 v161, v188, v161                             // 000000009188: 0B4343BC
	v_mul_f32_e32 v162, v188, v162                             // 00000000918C: 0B4545BC
	v_mul_f32_e32 v163, v188, v163                             // 000000009190: 0B4747BC
	v_mul_f32_e32 v164, v188, v164                             // 000000009194: 0B4949BC
	v_mul_f32_e32 v165, v188, v165                             // 000000009198: 0B4B4BBC
	v_mul_f32_e32 v166, v188, v166                             // 00000000919C: 0B4D4DBC
	v_mul_f32_e32 v167, v188, v167                             // 0000000091A0: 0B4F4FBC
	v_mul_f32_e32 v168, v188, v168                             // 0000000091A4: 0B5151BC
	v_mul_f32_e32 v169, v188, v169                             // 0000000091A8: 0B5353BC
	v_mul_f32_e32 v170, v188, v170                             // 0000000091AC: 0B5555BC
	v_mul_f32_e32 v171, v188, v171                             // 0000000091B0: 0B5757BC
	v_mul_f32_e32 v172, v188, v172                             // 0000000091B4: 0B5959BC
	v_mul_f32_e32 v173, v188, v173                             // 0000000091B8: 0B5B5BBC
	v_mul_f32_e32 v174, v188, v174                             // 0000000091BC: 0B5D5DBC
	v_mul_f32_e32 v175, v188, v175                             // 0000000091C0: 0B5F5FBC
	v_mul_f32_e32 v176, v188, v176                             // 0000000091C4: 0B6161BC
	v_mul_f32_e32 v177, v188, v177                             // 0000000091C8: 0B6363BC
	v_mul_f32_e32 v178, v188, v178                             // 0000000091CC: 0B6565BC
	v_mul_f32_e32 v179, v188, v179                             // 0000000091D0: 0B6767BC
	s_barrier                                                  // 0000000091D4: BF8A0000
	v_cvt_pk_fp8_f32 v52, v52, v53                             // 0000000091D8: D2A20034 00026B34
	v_cvt_pk_fp8_f32 v52, v54, v55 op_sel:[0,0,1]              // 0000000091E0: D2A24034 00026F36
	v_cvt_pk_fp8_f32 v53, v56, v57                             // 0000000091E8: D2A20035 00027338
	v_cvt_pk_fp8_f32 v53, v58, v59 op_sel:[0,0,1]              // 0000000091F0: D2A24035 0002773A
	v_cvt_pk_fp8_f32 v54, v60, v61                             // 0000000091F8: D2A20036 00027B3C
	v_cvt_pk_fp8_f32 v54, v62, v63 op_sel:[0,0,1]              // 000000009200: D2A24036 00027F3E
	v_cvt_pk_fp8_f32 v55, v64, v65                             // 000000009208: D2A20037 00028340
	v_cvt_pk_fp8_f32 v55, v66, v67 op_sel:[0,0,1]              // 000000009210: D2A24037 00028742
	v_cvt_pk_fp8_f32 v56, v68, v69                             // 000000009218: D2A20038 00028B44
	v_cvt_pk_fp8_f32 v56, v70, v71 op_sel:[0,0,1]              // 000000009220: D2A24038 00028F46
	v_cvt_pk_fp8_f32 v57, v72, v73                             // 000000009228: D2A20039 00029348
	v_cvt_pk_fp8_f32 v57, v74, v75 op_sel:[0,0,1]              // 000000009230: D2A24039 0002974A
	v_cvt_pk_fp8_f32 v58, v76, v77                             // 000000009238: D2A2003A 00029B4C
	v_cvt_pk_fp8_f32 v58, v78, v79 op_sel:[0,0,1]              // 000000009240: D2A2403A 00029F4E
	v_cvt_pk_fp8_f32 v59, v80, v81                             // 000000009248: D2A2003B 0002A350
	v_cvt_pk_fp8_f32 v59, v82, v83 op_sel:[0,0,1]              // 000000009250: D2A2403B 0002A752
	v_cvt_pk_fp8_f32 v60, v84, v85                             // 000000009258: D2A2003C 0002AB54
	v_cvt_pk_fp8_f32 v60, v86, v87 op_sel:[0,0,1]              // 000000009260: D2A2403C 0002AF56
	v_cvt_pk_fp8_f32 v61, v88, v89                             // 000000009268: D2A2003D 0002B358
	v_cvt_pk_fp8_f32 v61, v90, v91 op_sel:[0,0,1]              // 000000009270: D2A2403D 0002B75A
	v_cvt_pk_fp8_f32 v62, v92, v93                             // 000000009278: D2A2003E 0002BB5C
	v_cvt_pk_fp8_f32 v62, v94, v95 op_sel:[0,0,1]              // 000000009280: D2A2403E 0002BF5E
	v_cvt_pk_fp8_f32 v63, v96, v97                             // 000000009288: D2A2003F 0002C360
	v_cvt_pk_fp8_f32 v63, v98, v99 op_sel:[0,0,1]              // 000000009290: D2A2403F 0002C762
	v_cvt_pk_fp8_f32 v64, v100, v101                           // 000000009298: D2A20040 0002CB64
	v_cvt_pk_fp8_f32 v64, v102, v103 op_sel:[0,0,1]            // 0000000092A0: D2A24040 0002CF66
	v_cvt_pk_fp8_f32 v65, v104, v105                           // 0000000092A8: D2A20041 0002D368
	v_cvt_pk_fp8_f32 v65, v106, v107 op_sel:[0,0,1]            // 0000000092B0: D2A24041 0002D76A
	v_cvt_pk_fp8_f32 v66, v108, v109                           // 0000000092B8: D2A20042 0002DB6C
	v_cvt_pk_fp8_f32 v66, v110, v111 op_sel:[0,0,1]            // 0000000092C0: D2A24042 0002DF6E
	v_cvt_pk_fp8_f32 v67, v112, v113                           // 0000000092C8: D2A20043 0002E370
	v_cvt_pk_fp8_f32 v67, v114, v115 op_sel:[0,0,1]            // 0000000092D0: D2A24043 0002E772
	s_barrier                                                  // 0000000092D8: BF8A0000
	s_waitcnt lgkmcnt(8)                                       // 0000000092DC: BF8CC87F
	s_setprio 1                                                // 0000000092E0: BF8F0001
	s_barrier                                                  // 0000000092E4: BF8A0000
	v_mfma_f32_32x32x64_f8f6f4 v[116:131], v[20:27], v[52:59], v[116:131]// 0000000092E8: D3AE0074 05D26914
	ds_read_b64_tr_b8 v[36:37], v219 offset:32                 // 0000000092F0: D9C40020 240000DB
	ds_read_b64_tr_b8 v[38:39], v219 offset:288                // 0000000092F8: D9C40120 260000DB
	ds_read_b64_tr_b8 v[40:41], v219 offset:544                // 000000009300: D9C40220 280000DB
	ds_read_b64_tr_b8 v[42:43], v219 offset:800                // 000000009308: D9C40320 2A0000DB
	s_waitcnt lgkmcnt(8)                                       // 000000009310: BF8CC87F
	v_mfma_f32_32x32x64_f8f6f4 v[116:131], v[28:35], v[60:67], v[116:131]// 000000009314: D3AE0074 05D2791C
	ds_read_b64_tr_b8 v[44:45], v219 offset:8352               // 00000000931C: D9C420A0 2C0000DB
	ds_read_b64_tr_b8 v[46:47], v219 offset:8608               // 000000009324: D9C421A0 2E0000DB
	ds_read_b64_tr_b8 v[48:49], v219 offset:8864               // 00000000932C: D9C422A0 300000DB
	ds_read_b64_tr_b8 v[50:51], v219 offset:9120               // 000000009334: D9C423A0 320000DB
	s_waitcnt lgkmcnt(8)                                       // 00000000933C: BF8CC87F
	v_mfma_f32_32x32x64_f8f6f4 v[132:147], v[36:43], v[52:59], v[132:147]// 000000009340: D3AE0084 06126924
	ds_read_b64_tr_b8 v[20:21], v219 offset:64                 // 000000009348: D9C40040 140000DB
	ds_read_b64_tr_b8 v[22:23], v219 offset:320                // 000000009350: D9C40140 160000DB
	ds_read_b64_tr_b8 v[24:25], v219 offset:576                // 000000009358: D9C40240 180000DB
	ds_read_b64_tr_b8 v[26:27], v219 offset:832                // 000000009360: D9C40340 1A0000DB
	s_waitcnt lgkmcnt(8)                                       // 000000009368: BF8CC87F
	v_mfma_f32_32x32x64_f8f6f4 v[132:147], v[44:51], v[60:67], v[132:147]// 00000000936C: D3AE0084 0612792C
	ds_read_b64_tr_b8 v[28:29], v219 offset:8384               // 000000009374: D9C420C0 1C0000DB
	ds_read_b64_tr_b8 v[30:31], v219 offset:8640               // 00000000937C: D9C421C0 1E0000DB
	ds_read_b64_tr_b8 v[32:33], v219 offset:8896               // 000000009384: D9C422C0 200000DB
	ds_read_b64_tr_b8 v[34:35], v219 offset:9152               // 00000000938C: D9C423C0 220000DB
	s_waitcnt lgkmcnt(8)                                       // 000000009394: BF8CC87F
	v_mfma_f32_32x32x64_f8f6f4 v[148:163], v[20:27], v[52:59], v[148:163]// 000000009398: D3AE0094 06526914
	ds_read_b64_tr_b8 v[36:37], v219 offset:96                 // 0000000093A0: D9C40060 240000DB
	ds_read_b64_tr_b8 v[38:39], v219 offset:352                // 0000000093A8: D9C40160 260000DB
	ds_read_b64_tr_b8 v[40:41], v219 offset:608                // 0000000093B0: D9C40260 280000DB
	ds_read_b64_tr_b8 v[42:43], v219 offset:864                // 0000000093B8: D9C40360 2A0000DB
	s_waitcnt lgkmcnt(8)                                       // 0000000093C0: BF8CC87F
	v_mfma_f32_32x32x64_f8f6f4 v[148:163], v[28:35], v[60:67], v[148:163]// 0000000093C4: D3AE0094 0652791C
	ds_read_b64_tr_b8 v[44:45], v219 offset:8416               // 0000000093CC: D9C420E0 2C0000DB
	ds_read_b64_tr_b8 v[46:47], v219 offset:8672               // 0000000093D4: D9C421E0 2E0000DB
	ds_read_b64_tr_b8 v[48:49], v219 offset:8928               // 0000000093DC: D9C422E0 300000DB
	ds_read_b64_tr_b8 v[50:51], v219 offset:9184               // 0000000093E4: D9C423E0 320000DB
	s_waitcnt lgkmcnt(8)                                       // 0000000093EC: BF8CC87F
	v_mfma_f32_32x32x64_f8f6f4 v[164:179], v[36:43], v[52:59], v[164:179]// 0000000093F0: D3AE00A4 06926924
	ds_read_b128 v[20:23], v218 offset:16640                   // 0000000093F8: D9FE4100 140000DA
	ds_read_b128 v[24:27], v218 offset:16672                   // 000000009400: D9FE4120 180000DA
	s_waitcnt lgkmcnt(6)                                       // 000000009408: BF8CC67F
	v_mfma_f32_32x32x64_f8f6f4 v[164:179], v[44:51], v[60:67], v[164:179]// 00000000940C: D3AE00A4 0692792C
	ds_read_b128 v[28:31], v218 offset:20800                   // 000000009414: D9FE5140 1C0000DA
	ds_read_b128 v[32:35], v218 offset:20832                   // 00000000941C: D9FE5160 200000DA
	s_addk_i32 s68, 0x80                                       // 000000009424: B7440080

0000000000009428 <label_5828>:
	s_cmp_lt_i32 s68, s43                                      // 000000009428: BF042B44
	s_cbranch_scc0 label_6608                                  // 00000000942C: BF840376
	s_waitcnt lgkmcnt(2)                                       // 000000009430: BF8CC27F
	v_mfma_f32_32x32x64_f8f6f4 v[52:67], v[20:27], v[4:11], 0  // 000000009434: D3AE0034 02020914
	v_mul_i32_i24_dpp v184, v181, v223 quad_perm:[0,0,0,0] row_mask:0xf bank_mask:0xf// 00000000943C: 0D71BEFA FF0000B5
	v_mul_i32_i24_dpp v185, v181, v223 quad_perm:[1,1,1,1] row_mask:0xf bank_mask:0xf// 000000009444: 0D73BEFA FF0055B5
	v_mul_i32_i24_dpp v186, v181, v223 quad_perm:[2,2,2,2] row_mask:0xf bank_mask:0xf// 00000000944C: 0D75BEFA FF00AAB5
	v_mul_i32_i24_dpp v187, v181, v223 quad_perm:[3,3,3,3] row_mask:0xf bank_mask:0xf// 000000009454: 0D77BEFA FF00FFB5
	v_add_u32_e32 v214, v213, v184                             // 00000000945C: 69AD71D5
	v_add_u32_e32 v215, v213, v185                             // 000000009460: 69AF73D5
	v_add_u32_e32 v216, v213, v186                             // 000000009464: 69B175D5
	v_add_u32_e32 v217, v213, v187                             // 000000009468: 69B377D5
	ds_read_b128 v[36:39], v218 offset:17152                   // 00000000946C: D9FE4300 240000DA
	ds_read_b128 v[40:43], v218 offset:17184                   // 000000009474: D9FE4320 280000DA
	s_waitcnt lgkmcnt(2)                                       // 00000000947C: BF8CC27F
	v_mfma_f32_32x32x64_f8f6f4 v[52:67], v[28:35], v[12:19], v[52:67]// 000000009480: D3AE0034 04D2191C
	s_add_u32 m0, s72, 0                                       // 000000009488: 807C8048
	buffer_load_dwordx4 v214, s[16:19], 0 offen lds            // 00000000948C: E05D1000 800400D6
	ds_read_b128 v[44:47], v218 offset:21312                   // 000000009494: D9FE5340 2C0000DA
	ds_read_b128 v[48:51], v218 offset:21344                   // 00000000949C: D9FE5360 300000DA
	s_waitcnt lgkmcnt(2)                                       // 0000000094A4: BF8CC27F
	v_mfma_f32_32x32x64_f8f6f4 v[68:83], v[36:43], v[4:11], 0  // 0000000094A8: D3AE0044 02020924
	s_add_u32 m0, s72, 0x410                                   // 0000000094B0: 807CFF48 00000410
	buffer_load_dwordx4 v215, s[16:19], 0 offen lds            // 0000000094B8: E05D1000 800400D7
	ds_read_b128 v[20:23], v218 offset:24960                   // 0000000094C0: D9FE6180 140000DA
	ds_read_b128 v[24:27], v218 offset:24992                   // 0000000094C8: D9FE61A0 180000DA
	s_waitcnt lgkmcnt(2)                                       // 0000000094D0: BF8CC27F
	v_mfma_f32_32x32x64_f8f6f4 v[68:83], v[44:51], v[12:19], v[68:83]// 0000000094D4: D3AE0044 0512192C
	s_add_u32 m0, s72, 0x820                                   // 0000000094DC: 807CFF48 00000820
	buffer_load_dwordx4 v216, s[16:19], 0 offen lds            // 0000000094E4: E05D1000 800400D8
	ds_read_b128 v[28:31], v218 offset:29120                   // 0000000094EC: D9FE71C0 1C0000DA
	ds_read_b128 v[32:35], v218 offset:29152                   // 0000000094F4: D9FE71E0 200000DA
	s_waitcnt lgkmcnt(2)                                       // 0000000094FC: BF8CC27F
	v_mfma_f32_32x32x64_f8f6f4 v[84:99], v[20:27], v[4:11], 0  // 000000009500: D3AE0054 02020914
	s_add_u32 m0, s72, 0xc30                                   // 000000009508: 807CFF48 00000C30
	buffer_load_dwordx4 v217, s[16:19], 0 offen lds            // 000000009510: E05D1000 800400D9
	ds_read_b128 v[36:39], v218 offset:25472                   // 000000009518: D9FE6380 240000DA
	ds_read_b128 v[40:43], v218 offset:25504                   // 000000009520: D9FE63A0 280000DA
	s_waitcnt lgkmcnt(2)                                       // 000000009528: BF8CC27F
	v_mfma_f32_32x32x64_f8f6f4 v[84:99], v[28:35], v[12:19], v[84:99]// 00000000952C: D3AE0054 0552191C
	ds_read_b128 v[44:47], v218 offset:29632                   // 000000009534: D9FE73C0 2C0000DA
	ds_read_b128 v[48:51], v218 offset:29664                   // 00000000953C: D9FE73E0 300000DA
	s_waitcnt lgkmcnt(2)                                       // 000000009544: BF8CC27F
	v_mfma_f32_32x32x64_f8f6f4 v[100:115], v[36:43], v[4:11], 0// 000000009548: D3AE0064 02020924
	ds_read_b64_tr_b8 v[20:21], v219 offset:16640              // 000000009550: D9C44100 140000DB
	ds_read_b64_tr_b8 v[22:23], v219 offset:16896              // 000000009558: D9C44200 160000DB
	ds_read_b64_tr_b8 v[24:25], v219 offset:17152              // 000000009560: D9C44300 180000DB
	ds_read_b64_tr_b8 v[26:27], v219 offset:17408              // 000000009568: D9C44400 1A0000DB
	s_waitcnt lgkmcnt(4)                                       // 000000009570: BF8CC47F
	v_mfma_f32_32x32x64_f8f6f4 v[100:115], v[44:51], v[12:19], v[100:115]// 000000009574: D3AE0064 0592192C
	ds_read_b64_tr_b8 v[28:29], v219 offset:24960              // 00000000957C: D9C46180 1C0000DB
	ds_read_b64_tr_b8 v[30:31], v219 offset:25216              // 000000009584: D9C46280 1E0000DB
	ds_read_b64_tr_b8 v[32:33], v219 offset:25472              // 00000000958C: D9C46380 200000DB
	ds_read_b64_tr_b8 v[34:35], v219 offset:25728              // 000000009594: D9C46480 220000DB
	s_nop 0                                                    // 00000000959C: BF800000
	s_nop 4                                                    // 0000000095A0: BF800004
	s_barrier                                                  // 0000000095A4: BF8A0000
	s_setprio 0                                                // 0000000095A8: BF8F0000
	s_barrier                                                  // 0000000095AC: BF8A0000
	v_add_u32_e32 v184, s68, v195                              // 0000000095B0: 69718644
	v_add_u32_e32 v185, 0, v184                                // 0000000095B4: 69737080
	v_cmp_lt_i32_e32 vcc, v185, v194                           // 0000000095B8: 7D8385B9
	s_nop 0                                                    // 0000000095BC: BF800000
	v_cndmask_b32_e32 v52, v197, v52, vcc                      // 0000000095C0: 006869C5
	v_add_u32_e32 v185, 1, v184                                // 0000000095C4: 69737081
	v_cmp_lt_i32_e32 vcc, v185, v194                           // 0000000095C8: 7D8385B9
	s_nop 0                                                    // 0000000095CC: BF800000
	v_cndmask_b32_e32 v53, v197, v53, vcc                      // 0000000095D0: 006A6BC5
	v_add_u32_e32 v185, 2, v184                                // 0000000095D4: 69737082
	v_cmp_lt_i32_e32 vcc, v185, v194                           // 0000000095D8: 7D8385B9
	s_nop 0                                                    // 0000000095DC: BF800000
	v_cndmask_b32_e32 v54, v197, v54, vcc                      // 0000000095E0: 006C6DC5
	v_add_u32_e32 v185, 3, v184                                // 0000000095E4: 69737083
	v_cmp_lt_i32_e32 vcc, v185, v194                           // 0000000095E8: 7D8385B9
	s_nop 0                                                    // 0000000095EC: BF800000
	v_cndmask_b32_e32 v55, v197, v55, vcc                      // 0000000095F0: 006E6FC5
	v_add_u32_e32 v185, 8, v184                                // 0000000095F4: 69737088
	v_cmp_lt_i32_e32 vcc, v185, v194                           // 0000000095F8: 7D8385B9
	s_nop 0                                                    // 0000000095FC: BF800000
	v_cndmask_b32_e32 v56, v197, v56, vcc                      // 000000009600: 007071C5
	v_add_u32_e32 v185, 9, v184                                // 000000009604: 69737089
	v_cmp_lt_i32_e32 vcc, v185, v194                           // 000000009608: 7D8385B9
	s_nop 0                                                    // 00000000960C: BF800000
	v_cndmask_b32_e32 v57, v197, v57, vcc                      // 000000009610: 007273C5
	v_add_u32_e32 v185, 10, v184                               // 000000009614: 6973708A
	v_cmp_lt_i32_e32 vcc, v185, v194                           // 000000009618: 7D8385B9
	s_nop 0                                                    // 00000000961C: BF800000
	v_cndmask_b32_e32 v58, v197, v58, vcc                      // 000000009620: 007475C5
	v_add_u32_e32 v185, 11, v184                               // 000000009624: 6973708B
	v_cmp_lt_i32_e32 vcc, v185, v194                           // 000000009628: 7D8385B9
	s_nop 0                                                    // 00000000962C: BF800000
	v_cndmask_b32_e32 v59, v197, v59, vcc                      // 000000009630: 007677C5
	v_add_u32_e32 v185, 16, v184                               // 000000009634: 69737090
	v_cmp_lt_i32_e32 vcc, v185, v194                           // 000000009638: 7D8385B9
	s_nop 0                                                    // 00000000963C: BF800000
	v_cndmask_b32_e32 v60, v197, v60, vcc                      // 000000009640: 007879C5
	v_add_u32_e32 v185, 17, v184                               // 000000009644: 69737091
	v_cmp_lt_i32_e32 vcc, v185, v194                           // 000000009648: 7D8385B9
	s_nop 0                                                    // 00000000964C: BF800000
	v_cndmask_b32_e32 v61, v197, v61, vcc                      // 000000009650: 007A7BC5
	v_add_u32_e32 v185, 18, v184                               // 000000009654: 69737092
	v_cmp_lt_i32_e32 vcc, v185, v194                           // 000000009658: 7D8385B9
	s_nop 0                                                    // 00000000965C: BF800000
	v_cndmask_b32_e32 v62, v197, v62, vcc                      // 000000009660: 007C7DC5
	v_add_u32_e32 v185, 19, v184                               // 000000009664: 69737093
	v_cmp_lt_i32_e32 vcc, v185, v194                           // 000000009668: 7D8385B9
	s_nop 0                                                    // 00000000966C: BF800000
	v_cndmask_b32_e32 v63, v197, v63, vcc                      // 000000009670: 007E7FC5
	v_add_u32_e32 v185, 24, v184                               // 000000009674: 69737098
	v_cmp_lt_i32_e32 vcc, v185, v194                           // 000000009678: 7D8385B9
	s_nop 0                                                    // 00000000967C: BF800000
	v_cndmask_b32_e32 v64, v197, v64, vcc                      // 000000009680: 008081C5
	v_add_u32_e32 v185, 25, v184                               // 000000009684: 69737099
	v_cmp_lt_i32_e32 vcc, v185, v194                           // 000000009688: 7D8385B9
	s_nop 0                                                    // 00000000968C: BF800000
	v_cndmask_b32_e32 v65, v197, v65, vcc                      // 000000009690: 008283C5
	v_add_u32_e32 v185, 26, v184                               // 000000009694: 6973709A
	v_cmp_lt_i32_e32 vcc, v185, v194                           // 000000009698: 7D8385B9
	s_nop 0                                                    // 00000000969C: BF800000
	v_cndmask_b32_e32 v66, v197, v66, vcc                      // 0000000096A0: 008485C5
	v_add_u32_e32 v185, 27, v184                               // 0000000096A4: 6973709B
	v_cmp_lt_i32_e32 vcc, v185, v194                           // 0000000096A8: 7D8385B9
	s_nop 0                                                    // 0000000096AC: BF800000
	v_cndmask_b32_e32 v67, v197, v67, vcc                      // 0000000096B0: 008687C5
	v_add_u32_e32 v185, 32, v184                               // 0000000096B4: 697370A0
	v_cmp_lt_i32_e32 vcc, v185, v194                           // 0000000096B8: 7D8385B9
	s_nop 0                                                    // 0000000096BC: BF800000
	v_cndmask_b32_e32 v68, v197, v68, vcc                      // 0000000096C0: 008889C5
	v_add_u32_e32 v185, 33, v184                               // 0000000096C4: 697370A1
	v_cmp_lt_i32_e32 vcc, v185, v194                           // 0000000096C8: 7D8385B9
	s_nop 0                                                    // 0000000096CC: BF800000
	v_cndmask_b32_e32 v69, v197, v69, vcc                      // 0000000096D0: 008A8BC5
	v_add_u32_e32 v185, 34, v184                               // 0000000096D4: 697370A2
	v_cmp_lt_i32_e32 vcc, v185, v194                           // 0000000096D8: 7D8385B9
	s_nop 0                                                    // 0000000096DC: BF800000
	v_cndmask_b32_e32 v70, v197, v70, vcc                      // 0000000096E0: 008C8DC5
	v_add_u32_e32 v185, 35, v184                               // 0000000096E4: 697370A3
	v_cmp_lt_i32_e32 vcc, v185, v194                           // 0000000096E8: 7D8385B9
	s_nop 0                                                    // 0000000096EC: BF800000
	v_cndmask_b32_e32 v71, v197, v71, vcc                      // 0000000096F0: 008E8FC5
	v_add_u32_e32 v185, 40, v184                               // 0000000096F4: 697370A8
	v_cmp_lt_i32_e32 vcc, v185, v194                           // 0000000096F8: 7D8385B9
	s_nop 0                                                    // 0000000096FC: BF800000
	v_cndmask_b32_e32 v72, v197, v72, vcc                      // 000000009700: 009091C5
	v_add_u32_e32 v185, 41, v184                               // 000000009704: 697370A9
	v_cmp_lt_i32_e32 vcc, v185, v194                           // 000000009708: 7D8385B9
	s_nop 0                                                    // 00000000970C: BF800000
	v_cndmask_b32_e32 v73, v197, v73, vcc                      // 000000009710: 009293C5
	v_add_u32_e32 v185, 42, v184                               // 000000009714: 697370AA
	v_cmp_lt_i32_e32 vcc, v185, v194                           // 000000009718: 7D8385B9
	s_nop 0                                                    // 00000000971C: BF800000
	v_cndmask_b32_e32 v74, v197, v74, vcc                      // 000000009720: 009495C5
	v_add_u32_e32 v185, 43, v184                               // 000000009724: 697370AB
	v_cmp_lt_i32_e32 vcc, v185, v194                           // 000000009728: 7D8385B9
	s_nop 0                                                    // 00000000972C: BF800000
	v_cndmask_b32_e32 v75, v197, v75, vcc                      // 000000009730: 009697C5
	v_add_u32_e32 v185, 48, v184                               // 000000009734: 697370B0
	v_cmp_lt_i32_e32 vcc, v185, v194                           // 000000009738: 7D8385B9
	s_nop 0                                                    // 00000000973C: BF800000
	v_cndmask_b32_e32 v76, v197, v76, vcc                      // 000000009740: 009899C5
	v_add_u32_e32 v185, 49, v184                               // 000000009744: 697370B1
	v_cmp_lt_i32_e32 vcc, v185, v194                           // 000000009748: 7D8385B9
	s_nop 0                                                    // 00000000974C: BF800000
	v_cndmask_b32_e32 v77, v197, v77, vcc                      // 000000009750: 009A9BC5
	v_add_u32_e32 v185, 50, v184                               // 000000009754: 697370B2
	v_cmp_lt_i32_e32 vcc, v185, v194                           // 000000009758: 7D8385B9
	s_nop 0                                                    // 00000000975C: BF800000
	v_cndmask_b32_e32 v78, v197, v78, vcc                      // 000000009760: 009C9DC5
	v_add_u32_e32 v185, 51, v184                               // 000000009764: 697370B3
	v_cmp_lt_i32_e32 vcc, v185, v194                           // 000000009768: 7D8385B9
	s_nop 0                                                    // 00000000976C: BF800000
	v_cndmask_b32_e32 v79, v197, v79, vcc                      // 000000009770: 009E9FC5
	v_add_u32_e32 v185, 56, v184                               // 000000009774: 697370B8
	v_cmp_lt_i32_e32 vcc, v185, v194                           // 000000009778: 7D8385B9
	s_nop 0                                                    // 00000000977C: BF800000
	v_cndmask_b32_e32 v80, v197, v80, vcc                      // 000000009780: 00A0A1C5
	v_add_u32_e32 v185, 57, v184                               // 000000009784: 697370B9
	v_cmp_lt_i32_e32 vcc, v185, v194                           // 000000009788: 7D8385B9
	s_nop 0                                                    // 00000000978C: BF800000
	v_cndmask_b32_e32 v81, v197, v81, vcc                      // 000000009790: 00A2A3C5
	v_add_u32_e32 v185, 58, v184                               // 000000009794: 697370BA
	v_cmp_lt_i32_e32 vcc, v185, v194                           // 000000009798: 7D8385B9
	s_nop 0                                                    // 00000000979C: BF800000
	v_cndmask_b32_e32 v82, v197, v82, vcc                      // 0000000097A0: 00A4A5C5
	v_add_u32_e32 v185, 59, v184                               // 0000000097A4: 697370BB
	v_cmp_lt_i32_e32 vcc, v185, v194                           // 0000000097A8: 7D8385B9
	s_nop 0                                                    // 0000000097AC: BF800000
	v_cndmask_b32_e32 v83, v197, v83, vcc                      // 0000000097B0: 00A6A7C5
	v_add_u32_e32 v185, 64, v184                               // 0000000097B4: 697370C0
	v_cmp_lt_i32_e32 vcc, v185, v194                           // 0000000097B8: 7D8385B9
	s_nop 0                                                    // 0000000097BC: BF800000
	v_cndmask_b32_e32 v84, v197, v84, vcc                      // 0000000097C0: 00A8A9C5
	v_add_u32_e32 v185, 0x41, v184                             // 0000000097C4: 697370FF 00000041
	v_cmp_lt_i32_e32 vcc, v185, v194                           // 0000000097CC: 7D8385B9
	s_nop 0                                                    // 0000000097D0: BF800000
	v_cndmask_b32_e32 v85, v197, v85, vcc                      // 0000000097D4: 00AAABC5
	v_add_u32_e32 v185, 0x42, v184                             // 0000000097D8: 697370FF 00000042
	v_cmp_lt_i32_e32 vcc, v185, v194                           // 0000000097E0: 7D8385B9
	s_nop 0                                                    // 0000000097E4: BF800000
	v_cndmask_b32_e32 v86, v197, v86, vcc                      // 0000000097E8: 00ACADC5
	v_add_u32_e32 v185, 0x43, v184                             // 0000000097EC: 697370FF 00000043
	v_cmp_lt_i32_e32 vcc, v185, v194                           // 0000000097F4: 7D8385B9
	s_nop 0                                                    // 0000000097F8: BF800000
	v_cndmask_b32_e32 v87, v197, v87, vcc                      // 0000000097FC: 00AEAFC5
	v_add_u32_e32 v185, 0x48, v184                             // 000000009800: 697370FF 00000048
	v_cmp_lt_i32_e32 vcc, v185, v194                           // 000000009808: 7D8385B9
	s_nop 0                                                    // 00000000980C: BF800000
	v_cndmask_b32_e32 v88, v197, v88, vcc                      // 000000009810: 00B0B1C5
	v_add_u32_e32 v185, 0x49, v184                             // 000000009814: 697370FF 00000049
	v_cmp_lt_i32_e32 vcc, v185, v194                           // 00000000981C: 7D8385B9
	s_nop 0                                                    // 000000009820: BF800000
	v_cndmask_b32_e32 v89, v197, v89, vcc                      // 000000009824: 00B2B3C5
	v_add_u32_e32 v185, 0x4a, v184                             // 000000009828: 697370FF 0000004A
	v_cmp_lt_i32_e32 vcc, v185, v194                           // 000000009830: 7D8385B9
	s_nop 0                                                    // 000000009834: BF800000
	v_cndmask_b32_e32 v90, v197, v90, vcc                      // 000000009838: 00B4B5C5
	v_add_u32_e32 v185, 0x4b, v184                             // 00000000983C: 697370FF 0000004B
	v_cmp_lt_i32_e32 vcc, v185, v194                           // 000000009844: 7D8385B9
	s_nop 0                                                    // 000000009848: BF800000
	v_cndmask_b32_e32 v91, v197, v91, vcc                      // 00000000984C: 00B6B7C5
	v_add_u32_e32 v185, 0x50, v184                             // 000000009850: 697370FF 00000050
	v_cmp_lt_i32_e32 vcc, v185, v194                           // 000000009858: 7D8385B9
	s_nop 0                                                    // 00000000985C: BF800000
	v_cndmask_b32_e32 v92, v197, v92, vcc                      // 000000009860: 00B8B9C5
	v_add_u32_e32 v185, 0x51, v184                             // 000000009864: 697370FF 00000051
	v_cmp_lt_i32_e32 vcc, v185, v194                           // 00000000986C: 7D8385B9
	s_nop 0                                                    // 000000009870: BF800000
	v_cndmask_b32_e32 v93, v197, v93, vcc                      // 000000009874: 00BABBC5
	v_add_u32_e32 v185, 0x52, v184                             // 000000009878: 697370FF 00000052
	v_cmp_lt_i32_e32 vcc, v185, v194                           // 000000009880: 7D8385B9
	s_nop 0                                                    // 000000009884: BF800000
	v_cndmask_b32_e32 v94, v197, v94, vcc                      // 000000009888: 00BCBDC5
	v_add_u32_e32 v185, 0x53, v184                             // 00000000988C: 697370FF 00000053
	v_cmp_lt_i32_e32 vcc, v185, v194                           // 000000009894: 7D8385B9
	s_nop 0                                                    // 000000009898: BF800000
	v_cndmask_b32_e32 v95, v197, v95, vcc                      // 00000000989C: 00BEBFC5
	v_add_u32_e32 v185, 0x58, v184                             // 0000000098A0: 697370FF 00000058
	v_cmp_lt_i32_e32 vcc, v185, v194                           // 0000000098A8: 7D8385B9
	s_nop 0                                                    // 0000000098AC: BF800000
	v_cndmask_b32_e32 v96, v197, v96, vcc                      // 0000000098B0: 00C0C1C5
	v_add_u32_e32 v185, 0x59, v184                             // 0000000098B4: 697370FF 00000059
	v_cmp_lt_i32_e32 vcc, v185, v194                           // 0000000098BC: 7D8385B9
	s_nop 0                                                    // 0000000098C0: BF800000
	v_cndmask_b32_e32 v97, v197, v97, vcc                      // 0000000098C4: 00C2C3C5
	v_add_u32_e32 v185, 0x5a, v184                             // 0000000098C8: 697370FF 0000005A
	v_cmp_lt_i32_e32 vcc, v185, v194                           // 0000000098D0: 7D8385B9
	s_nop 0                                                    // 0000000098D4: BF800000
	v_cndmask_b32_e32 v98, v197, v98, vcc                      // 0000000098D8: 00C4C5C5
	v_add_u32_e32 v185, 0x5b, v184                             // 0000000098DC: 697370FF 0000005B
	v_cmp_lt_i32_e32 vcc, v185, v194                           // 0000000098E4: 7D8385B9
	s_nop 0                                                    // 0000000098E8: BF800000
	v_cndmask_b32_e32 v99, v197, v99, vcc                      // 0000000098EC: 00C6C7C5
	v_add_u32_e32 v185, 0x60, v184                             // 0000000098F0: 697370FF 00000060
	v_cmp_lt_i32_e32 vcc, v185, v194                           // 0000000098F8: 7D8385B9
	s_nop 0                                                    // 0000000098FC: BF800000
	v_cndmask_b32_e32 v100, v197, v100, vcc                    // 000000009900: 00C8C9C5
	v_add_u32_e32 v185, 0x61, v184                             // 000000009904: 697370FF 00000061
	v_cmp_lt_i32_e32 vcc, v185, v194                           // 00000000990C: 7D8385B9
	s_nop 0                                                    // 000000009910: BF800000
	v_cndmask_b32_e32 v101, v197, v101, vcc                    // 000000009914: 00CACBC5
	v_add_u32_e32 v185, 0x62, v184                             // 000000009918: 697370FF 00000062
	v_cmp_lt_i32_e32 vcc, v185, v194                           // 000000009920: 7D8385B9
	s_nop 0                                                    // 000000009924: BF800000
	v_cndmask_b32_e32 v102, v197, v102, vcc                    // 000000009928: 00CCCDC5
	v_add_u32_e32 v185, 0x63, v184                             // 00000000992C: 697370FF 00000063
	v_cmp_lt_i32_e32 vcc, v185, v194                           // 000000009934: 7D8385B9
	s_nop 0                                                    // 000000009938: BF800000
	v_cndmask_b32_e32 v103, v197, v103, vcc                    // 00000000993C: 00CECFC5
	v_add_u32_e32 v185, 0x68, v184                             // 000000009940: 697370FF 00000068
	v_cmp_lt_i32_e32 vcc, v185, v194                           // 000000009948: 7D8385B9
	s_nop 0                                                    // 00000000994C: BF800000
	v_cndmask_b32_e32 v104, v197, v104, vcc                    // 000000009950: 00D0D1C5
	v_add_u32_e32 v185, 0x69, v184                             // 000000009954: 697370FF 00000069
	v_cmp_lt_i32_e32 vcc, v185, v194                           // 00000000995C: 7D8385B9
	s_nop 0                                                    // 000000009960: BF800000
	v_cndmask_b32_e32 v105, v197, v105, vcc                    // 000000009964: 00D2D3C5
	v_add_u32_e32 v185, 0x6a, v184                             // 000000009968: 697370FF 0000006A
	v_cmp_lt_i32_e32 vcc, v185, v194                           // 000000009970: 7D8385B9
	s_nop 0                                                    // 000000009974: BF800000
	v_cndmask_b32_e32 v106, v197, v106, vcc                    // 000000009978: 00D4D5C5
	v_add_u32_e32 v185, 0x6b, v184                             // 00000000997C: 697370FF 0000006B
	v_cmp_lt_i32_e32 vcc, v185, v194                           // 000000009984: 7D8385B9
	s_nop 0                                                    // 000000009988: BF800000
	v_cndmask_b32_e32 v107, v197, v107, vcc                    // 00000000998C: 00D6D7C5
	v_add_u32_e32 v185, 0x70, v184                             // 000000009990: 697370FF 00000070
	v_cmp_lt_i32_e32 vcc, v185, v194                           // 000000009998: 7D8385B9
	s_nop 0                                                    // 00000000999C: BF800000
	v_cndmask_b32_e32 v108, v197, v108, vcc                    // 0000000099A0: 00D8D9C5
	v_add_u32_e32 v185, 0x71, v184                             // 0000000099A4: 697370FF 00000071
	v_cmp_lt_i32_e32 vcc, v185, v194                           // 0000000099AC: 7D8385B9
	s_nop 0                                                    // 0000000099B0: BF800000
	v_cndmask_b32_e32 v109, v197, v109, vcc                    // 0000000099B4: 00DADBC5
	v_add_u32_e32 v185, 0x72, v184                             // 0000000099B8: 697370FF 00000072
	v_cmp_lt_i32_e32 vcc, v185, v194                           // 0000000099C0: 7D8385B9
	s_nop 0                                                    // 0000000099C4: BF800000
	v_cndmask_b32_e32 v110, v197, v110, vcc                    // 0000000099C8: 00DCDDC5
	v_add_u32_e32 v185, 0x73, v184                             // 0000000099CC: 697370FF 00000073
	v_cmp_lt_i32_e32 vcc, v185, v194                           // 0000000099D4: 7D8385B9
	s_nop 0                                                    // 0000000099D8: BF800000
	v_cndmask_b32_e32 v111, v197, v111, vcc                    // 0000000099DC: 00DEDFC5
	v_add_u32_e32 v185, 0x78, v184                             // 0000000099E0: 697370FF 00000078
	v_cmp_lt_i32_e32 vcc, v185, v194                           // 0000000099E8: 7D8385B9
	s_nop 0                                                    // 0000000099EC: BF800000
	v_cndmask_b32_e32 v112, v197, v112, vcc                    // 0000000099F0: 00E0E1C5
	v_add_u32_e32 v185, 0x79, v184                             // 0000000099F4: 697370FF 00000079
	v_cmp_lt_i32_e32 vcc, v185, v194                           // 0000000099FC: 7D8385B9
	s_nop 0                                                    // 000000009A00: BF800000
	v_cndmask_b32_e32 v113, v197, v113, vcc                    // 000000009A04: 00E2E3C5
	v_add_u32_e32 v185, 0x7a, v184                             // 000000009A08: 697370FF 0000007A
	v_cmp_lt_i32_e32 vcc, v185, v194                           // 000000009A10: 7D8385B9
	s_nop 0                                                    // 000000009A14: BF800000
	v_cndmask_b32_e32 v114, v197, v114, vcc                    // 000000009A18: 00E4E5C5
	v_add_u32_e32 v185, 0x7b, v184                             // 000000009A1C: 697370FF 0000007B
	v_cmp_lt_i32_e32 vcc, v185, v194                           // 000000009A24: 7D8385B9
	s_nop 0                                                    // 000000009A28: BF800000
	v_cndmask_b32_e32 v115, v197, v115, vcc                    // 000000009A2C: 00E6E7C5
	v_mov_b32_e32 v193, v192                                   // 000000009A30: 7F8203C0
	v_max3_f32 v193, v52, v53, v193                            // 000000009A34: D1D300C1 07066B34
	v_max3_f32 v193, v54, v55, v193                            // 000000009A3C: D1D300C1 07066F36
	v_max3_f32 v193, v56, v57, v193                            // 000000009A44: D1D300C1 07067338
	v_max3_f32 v193, v58, v59, v193                            // 000000009A4C: D1D300C1 0706773A
	v_max3_f32 v193, v60, v61, v193                            // 000000009A54: D1D300C1 07067B3C
	v_max3_f32 v193, v62, v63, v193                            // 000000009A5C: D1D300C1 07067F3E
	v_max3_f32 v193, v64, v65, v193                            // 000000009A64: D1D300C1 07068340
	v_max3_f32 v193, v66, v67, v193                            // 000000009A6C: D1D300C1 07068742
	v_max3_f32 v193, v68, v69, v193                            // 000000009A74: D1D300C1 07068B44
	v_max3_f32 v193, v70, v71, v193                            // 000000009A7C: D1D300C1 07068F46
	v_max3_f32 v193, v72, v73, v193                            // 000000009A84: D1D300C1 07069348
	v_max3_f32 v193, v74, v75, v193                            // 000000009A8C: D1D300C1 0706974A
	v_max3_f32 v193, v76, v77, v193                            // 000000009A94: D1D300C1 07069B4C
	v_max3_f32 v193, v78, v79, v193                            // 000000009A9C: D1D300C1 07069F4E
	v_max3_f32 v193, v80, v81, v193                            // 000000009AA4: D1D300C1 0706A350
	v_max3_f32 v193, v82, v83, v193                            // 000000009AAC: D1D300C1 0706A752
	v_max3_f32 v193, v84, v85, v193                            // 000000009AB4: D1D300C1 0706AB54
	v_max3_f32 v193, v86, v87, v193                            // 000000009ABC: D1D300C1 0706AF56
	v_max3_f32 v193, v88, v89, v193                            // 000000009AC4: D1D300C1 0706B358
	v_max3_f32 v193, v90, v91, v193                            // 000000009ACC: D1D300C1 0706B75A
	v_max3_f32 v193, v92, v93, v193                            // 000000009AD4: D1D300C1 0706BB5C
	v_max3_f32 v193, v94, v95, v193                            // 000000009ADC: D1D300C1 0706BF5E
	v_max3_f32 v193, v96, v97, v193                            // 000000009AE4: D1D300C1 0706C360
	v_max3_f32 v193, v98, v99, v193                            // 000000009AEC: D1D300C1 0706C762
	v_max3_f32 v193, v100, v101, v193                          // 000000009AF4: D1D300C1 0706CB64
	v_max3_f32 v193, v102, v103, v193                          // 000000009AFC: D1D300C1 0706CF66
	v_max3_f32 v193, v104, v105, v193                          // 000000009B04: D1D300C1 0706D368
	v_max3_f32 v193, v106, v107, v193                          // 000000009B0C: D1D300C1 0706D76A
	v_max3_f32 v193, v108, v109, v193                          // 000000009B14: D1D300C1 0706DB6C
	v_max3_f32 v193, v110, v111, v193                          // 000000009B1C: D1D300C1 0706DF6E
	v_max3_f32 v193, v112, v113, v193                          // 000000009B24: D1D300C1 0706E370
	v_max3_f32 v193, v114, v115, v193                          // 000000009B2C: D1D300C1 0706E772
	v_mov_b32_e32 v184, v193                                   // 000000009B34: 7F7003C1
	s_nop 1                                                    // 000000009B38: BF800001
	s_nop 0                                                    // 000000009B3C: BF800000
	v_permlane32_swap_b32_e32 v184, v193                       // 000000009B40: 7F70B5C1
	v_max_f32_e32 v193, v193, v184                             // 000000009B44: 178371C1
	v_cmp_eq_u32_e64 s[66:67], v197, v193                      // 000000009B48: D0CA0042 000383C5
	s_nop 0                                                    // 000000009B50: BF800000
	v_cndmask_b32_e64 v193, v193, 0, s[66:67]                  // 000000009B54: D10000C1 010901C1
	v_mul_f32_e64 v184, -s26, v193                             // 000000009B5C: D10500B8 2003821A
	v_mov_b32_e32 v185, v184                                   // 000000009B64: 7F7203B8
	v_pk_fma_f32 v[52:53], v[52:53], s[26:27], v[184:185]      // 000000009B68: D3B04034 1EE03534
	v_pk_fma_f32 v[54:55], v[54:55], s[26:27], v[184:185]      // 000000009B70: D3B04036 1EE03536
	v_pk_fma_f32 v[56:57], v[56:57], s[26:27], v[184:185]      // 000000009B78: D3B04038 1EE03538
	v_pk_fma_f32 v[58:59], v[58:59], s[26:27], v[184:185]      // 000000009B80: D3B0403A 1EE0353A
	v_pk_fma_f32 v[60:61], v[60:61], s[26:27], v[184:185]      // 000000009B88: D3B0403C 1EE0353C
	v_pk_fma_f32 v[62:63], v[62:63], s[26:27], v[184:185]      // 000000009B90: D3B0403E 1EE0353E
	v_pk_fma_f32 v[64:65], v[64:65], s[26:27], v[184:185]      // 000000009B98: D3B04040 1EE03540
	v_pk_fma_f32 v[66:67], v[66:67], s[26:27], v[184:185]      // 000000009BA0: D3B04042 1EE03542
	v_pk_fma_f32 v[68:69], v[68:69], s[26:27], v[184:185]      // 000000009BA8: D3B04044 1EE03544
	v_pk_fma_f32 v[70:71], v[70:71], s[26:27], v[184:185]      // 000000009BB0: D3B04046 1EE03546
	v_pk_fma_f32 v[72:73], v[72:73], s[26:27], v[184:185]      // 000000009BB8: D3B04048 1EE03548
	v_pk_fma_f32 v[74:75], v[74:75], s[26:27], v[184:185]      // 000000009BC0: D3B0404A 1EE0354A
	v_pk_fma_f32 v[76:77], v[76:77], s[26:27], v[184:185]      // 000000009BC8: D3B0404C 1EE0354C
	v_pk_fma_f32 v[78:79], v[78:79], s[26:27], v[184:185]      // 000000009BD0: D3B0404E 1EE0354E
	v_pk_fma_f32 v[80:81], v[80:81], s[26:27], v[184:185]      // 000000009BD8: D3B04050 1EE03550
	v_pk_fma_f32 v[82:83], v[82:83], s[26:27], v[184:185]      // 000000009BE0: D3B04052 1EE03552
	v_pk_fma_f32 v[84:85], v[84:85], s[26:27], v[184:185]      // 000000009BE8: D3B04054 1EE03554
	v_pk_fma_f32 v[86:87], v[86:87], s[26:27], v[184:185]      // 000000009BF0: D3B04056 1EE03556
	v_pk_fma_f32 v[88:89], v[88:89], s[26:27], v[184:185]      // 000000009BF8: D3B04058 1EE03558
	v_pk_fma_f32 v[90:91], v[90:91], s[26:27], v[184:185]      // 000000009C00: D3B0405A 1EE0355A
	v_pk_fma_f32 v[92:93], v[92:93], s[26:27], v[184:185]      // 000000009C08: D3B0405C 1EE0355C
	v_pk_fma_f32 v[94:95], v[94:95], s[26:27], v[184:185]      // 000000009C10: D3B0405E 1EE0355E
	v_pk_fma_f32 v[96:97], v[96:97], s[26:27], v[184:185]      // 000000009C18: D3B04060 1EE03560
	v_pk_fma_f32 v[98:99], v[98:99], s[26:27], v[184:185]      // 000000009C20: D3B04062 1EE03562
	v_pk_fma_f32 v[100:101], v[100:101], s[26:27], v[184:185]  // 000000009C28: D3B04064 1EE03564
	v_pk_fma_f32 v[102:103], v[102:103], s[26:27], v[184:185]  // 000000009C30: D3B04066 1EE03566
	v_pk_fma_f32 v[104:105], v[104:105], s[26:27], v[184:185]  // 000000009C38: D3B04068 1EE03568
	v_pk_fma_f32 v[106:107], v[106:107], s[26:27], v[184:185]  // 000000009C40: D3B0406A 1EE0356A
	v_pk_fma_f32 v[108:109], v[108:109], s[26:27], v[184:185]  // 000000009C48: D3B0406C 1EE0356C
	v_pk_fma_f32 v[110:111], v[110:111], s[26:27], v[184:185]  // 000000009C50: D3B0406E 1EE0356E
	v_pk_fma_f32 v[112:113], v[112:113], s[26:27], v[184:185]  // 000000009C58: D3B04070 1EE03570
	v_pk_fma_f32 v[114:115], v[114:115], s[26:27], v[184:185]  // 000000009C60: D3B04072 1EE03572
	s_barrier                                                  // 000000009C68: BF8A0000
	v_exp_f32_e32 v52, v52                                     // 000000009C6C: 7E684134
	v_exp_f32_e32 v53, v53                                     // 000000009C70: 7E6A4135
	v_exp_f32_e32 v54, v54                                     // 000000009C74: 7E6C4136
	v_exp_f32_e32 v55, v55                                     // 000000009C78: 7E6E4137
	v_exp_f32_e32 v56, v56                                     // 000000009C7C: 7E704138
	v_exp_f32_e32 v57, v57                                     // 000000009C80: 7E724139
	v_exp_f32_e32 v58, v58                                     // 000000009C84: 7E74413A
	v_exp_f32_e32 v59, v59                                     // 000000009C88: 7E76413B
	v_exp_f32_e32 v60, v60                                     // 000000009C8C: 7E78413C
	v_exp_f32_e32 v61, v61                                     // 000000009C90: 7E7A413D
	v_exp_f32_e32 v62, v62                                     // 000000009C94: 7E7C413E
	v_exp_f32_e32 v63, v63                                     // 000000009C98: 7E7E413F
	v_exp_f32_e32 v64, v64                                     // 000000009C9C: 7E804140
	v_exp_f32_e32 v65, v65                                     // 000000009CA0: 7E824141
	v_exp_f32_e32 v66, v66                                     // 000000009CA4: 7E844142
	v_exp_f32_e32 v67, v67                                     // 000000009CA8: 7E864143
	v_exp_f32_e32 v68, v68                                     // 000000009CAC: 7E884144
	v_exp_f32_e32 v69, v69                                     // 000000009CB0: 7E8A4145
	v_exp_f32_e32 v70, v70                                     // 000000009CB4: 7E8C4146
	v_exp_f32_e32 v71, v71                                     // 000000009CB8: 7E8E4147
	v_exp_f32_e32 v72, v72                                     // 000000009CBC: 7E904148
	v_exp_f32_e32 v73, v73                                     // 000000009CC0: 7E924149
	v_exp_f32_e32 v74, v74                                     // 000000009CC4: 7E94414A
	v_exp_f32_e32 v75, v75                                     // 000000009CC8: 7E96414B
	v_exp_f32_e32 v76, v76                                     // 000000009CCC: 7E98414C
	v_exp_f32_e32 v77, v77                                     // 000000009CD0: 7E9A414D
	v_exp_f32_e32 v78, v78                                     // 000000009CD4: 7E9C414E
	v_exp_f32_e32 v79, v79                                     // 000000009CD8: 7E9E414F
	v_exp_f32_e32 v80, v80                                     // 000000009CDC: 7EA04150
	v_exp_f32_e32 v81, v81                                     // 000000009CE0: 7EA24151
	v_exp_f32_e32 v82, v82                                     // 000000009CE4: 7EA44152
	v_exp_f32_e32 v83, v83                                     // 000000009CE8: 7EA64153
	v_exp_f32_e32 v84, v84                                     // 000000009CEC: 7EA84154
	v_exp_f32_e32 v85, v85                                     // 000000009CF0: 7EAA4155
	v_exp_f32_e32 v86, v86                                     // 000000009CF4: 7EAC4156
	v_exp_f32_e32 v87, v87                                     // 000000009CF8: 7EAE4157
	v_exp_f32_e32 v88, v88                                     // 000000009CFC: 7EB04158
	v_exp_f32_e32 v89, v89                                     // 000000009D00: 7EB24159
	v_exp_f32_e32 v90, v90                                     // 000000009D04: 7EB4415A
	v_exp_f32_e32 v91, v91                                     // 000000009D08: 7EB6415B
	v_exp_f32_e32 v92, v92                                     // 000000009D0C: 7EB8415C
	v_exp_f32_e32 v93, v93                                     // 000000009D10: 7EBA415D
	v_exp_f32_e32 v94, v94                                     // 000000009D14: 7EBC415E
	v_exp_f32_e32 v95, v95                                     // 000000009D18: 7EBE415F
	v_exp_f32_e32 v96, v96                                     // 000000009D1C: 7EC04160
	v_exp_f32_e32 v97, v97                                     // 000000009D20: 7EC24161
	v_exp_f32_e32 v98, v98                                     // 000000009D24: 7EC44162
	v_exp_f32_e32 v99, v99                                     // 000000009D28: 7EC64163
	v_exp_f32_e32 v100, v100                                   // 000000009D2C: 7EC84164
	v_exp_f32_e32 v101, v101                                   // 000000009D30: 7ECA4165
	v_exp_f32_e32 v102, v102                                   // 000000009D34: 7ECC4166
	v_exp_f32_e32 v103, v103                                   // 000000009D38: 7ECE4167
	v_exp_f32_e32 v104, v104                                   // 000000009D3C: 7ED04168
	v_exp_f32_e32 v105, v105                                   // 000000009D40: 7ED24169
	v_exp_f32_e32 v106, v106                                   // 000000009D44: 7ED4416A
	v_exp_f32_e32 v107, v107                                   // 000000009D48: 7ED6416B
	v_exp_f32_e32 v108, v108                                   // 000000009D4C: 7ED8416C
	v_exp_f32_e32 v109, v109                                   // 000000009D50: 7EDA416D
	v_exp_f32_e32 v110, v110                                   // 000000009D54: 7EDC416E
	v_exp_f32_e32 v111, v111                                   // 000000009D58: 7EDE416F
	v_exp_f32_e32 v112, v112                                   // 000000009D5C: 7EE04170
	v_exp_f32_e32 v113, v113                                   // 000000009D60: 7EE24171
	v_exp_f32_e32 v114, v114                                   // 000000009D64: 7EE44172
	v_exp_f32_e32 v115, v115                                   // 000000009D68: 7EE64173
	v_sub_f32_e32 v188, v192, v193                             // 000000009D6C: 057983C0
	v_cmp_eq_u32_e64 s[66:67], v197, v192                      // 000000009D70: D0CA0042 000381C5
	s_nop 0                                                    // 000000009D78: BF800000
	v_cndmask_b32_e64 v188, v188, 0, s[66:67]                  // 000000009D7C: D10000BC 010901BC
	v_mov_b32_e32 v192, v193                                   // 000000009D84: 7F8003C1
	v_mul_f32_e32 v188, s26, v188                              // 000000009D88: 0B79781A
	v_exp_f32_e32 v188, v188                                   // 000000009D8C: 7F7841BC
	s_nop 0                                                    // 000000009D90: BF800000
	v_mul_f32_e32 v190, v188, v190                             // 000000009D94: 0B7D7DBC
	v_add_f32_e32 v190, v52, v190                              // 000000009D98: 037D7D34
	v_add_f32_e32 v190, v53, v190                              // 000000009D9C: 037D7D35
	v_add_f32_e32 v190, v54, v190                              // 000000009DA0: 037D7D36
	v_add_f32_e32 v190, v55, v190                              // 000000009DA4: 037D7D37
	v_add_f32_e32 v190, v56, v190                              // 000000009DA8: 037D7D38
	v_add_f32_e32 v190, v57, v190                              // 000000009DAC: 037D7D39
	v_add_f32_e32 v190, v58, v190                              // 000000009DB0: 037D7D3A
	v_add_f32_e32 v190, v59, v190                              // 000000009DB4: 037D7D3B
	v_add_f32_e32 v190, v60, v190                              // 000000009DB8: 037D7D3C
	v_add_f32_e32 v190, v61, v190                              // 000000009DBC: 037D7D3D
	v_add_f32_e32 v190, v62, v190                              // 000000009DC0: 037D7D3E
	v_add_f32_e32 v190, v63, v190                              // 000000009DC4: 037D7D3F
	v_add_f32_e32 v190, v64, v190                              // 000000009DC8: 037D7D40
	v_add_f32_e32 v190, v65, v190                              // 000000009DCC: 037D7D41
	v_add_f32_e32 v190, v66, v190                              // 000000009DD0: 037D7D42
	v_add_f32_e32 v190, v67, v190                              // 000000009DD4: 037D7D43
	v_add_f32_e32 v190, v68, v190                              // 000000009DD8: 037D7D44
	v_add_f32_e32 v190, v69, v190                              // 000000009DDC: 037D7D45
	v_add_f32_e32 v190, v70, v190                              // 000000009DE0: 037D7D46
	v_add_f32_e32 v190, v71, v190                              // 000000009DE4: 037D7D47
	v_add_f32_e32 v190, v72, v190                              // 000000009DE8: 037D7D48
	v_add_f32_e32 v190, v73, v190                              // 000000009DEC: 037D7D49
	v_add_f32_e32 v190, v74, v190                              // 000000009DF0: 037D7D4A
	v_add_f32_e32 v190, v75, v190                              // 000000009DF4: 037D7D4B
	v_add_f32_e32 v190, v76, v190                              // 000000009DF8: 037D7D4C
	v_add_f32_e32 v190, v77, v190                              // 000000009DFC: 037D7D4D
	v_add_f32_e32 v190, v78, v190                              // 000000009E00: 037D7D4E
	v_add_f32_e32 v190, v79, v190                              // 000000009E04: 037D7D4F
	v_add_f32_e32 v190, v80, v190                              // 000000009E08: 037D7D50
	v_add_f32_e32 v190, v81, v190                              // 000000009E0C: 037D7D51
	v_add_f32_e32 v190, v82, v190                              // 000000009E10: 037D7D52
	v_add_f32_e32 v190, v83, v190                              // 000000009E14: 037D7D53
	v_add_f32_e32 v190, v84, v190                              // 000000009E18: 037D7D54
	v_add_f32_e32 v190, v85, v190                              // 000000009E1C: 037D7D55
	v_add_f32_e32 v190, v86, v190                              // 000000009E20: 037D7D56
	v_add_f32_e32 v190, v87, v190                              // 000000009E24: 037D7D57
	v_add_f32_e32 v190, v88, v190                              // 000000009E28: 037D7D58
	v_add_f32_e32 v190, v89, v190                              // 000000009E2C: 037D7D59
	v_add_f32_e32 v190, v90, v190                              // 000000009E30: 037D7D5A
	v_add_f32_e32 v190, v91, v190                              // 000000009E34: 037D7D5B
	v_add_f32_e32 v190, v92, v190                              // 000000009E38: 037D7D5C
	v_add_f32_e32 v190, v93, v190                              // 000000009E3C: 037D7D5D
	v_add_f32_e32 v190, v94, v190                              // 000000009E40: 037D7D5E
	v_add_f32_e32 v190, v95, v190                              // 000000009E44: 037D7D5F
	v_add_f32_e32 v190, v96, v190                              // 000000009E48: 037D7D60
	v_add_f32_e32 v190, v97, v190                              // 000000009E4C: 037D7D61
	v_add_f32_e32 v190, v98, v190                              // 000000009E50: 037D7D62
	v_add_f32_e32 v190, v99, v190                              // 000000009E54: 037D7D63
	v_add_f32_e32 v190, v100, v190                             // 000000009E58: 037D7D64
	v_add_f32_e32 v190, v101, v190                             // 000000009E5C: 037D7D65
	v_add_f32_e32 v190, v102, v190                             // 000000009E60: 037D7D66
	v_add_f32_e32 v190, v103, v190                             // 000000009E64: 037D7D67
	v_add_f32_e32 v190, v104, v190                             // 000000009E68: 037D7D68
	v_add_f32_e32 v190, v105, v190                             // 000000009E6C: 037D7D69
	v_add_f32_e32 v190, v106, v190                             // 000000009E70: 037D7D6A
	v_add_f32_e32 v190, v107, v190                             // 000000009E74: 037D7D6B
	v_add_f32_e32 v190, v108, v190                             // 000000009E78: 037D7D6C
	v_add_f32_e32 v190, v109, v190                             // 000000009E7C: 037D7D6D
	v_add_f32_e32 v190, v110, v190                             // 000000009E80: 037D7D6E
	v_add_f32_e32 v190, v111, v190                             // 000000009E84: 037D7D6F
	v_add_f32_e32 v190, v112, v190                             // 000000009E88: 037D7D70
	v_add_f32_e32 v190, v113, v190                             // 000000009E8C: 037D7D71
	v_add_f32_e32 v190, v114, v190                             // 000000009E90: 037D7D72
	v_add_f32_e32 v190, v115, v190                             // 000000009E94: 037D7D73
	v_mul_f32_e32 v116, v188, v116                             // 000000009E98: 0AE8E9BC
	v_mul_f32_e32 v117, v188, v117                             // 000000009E9C: 0AEAEBBC
	v_mul_f32_e32 v118, v188, v118                             // 000000009EA0: 0AECEDBC
	v_mul_f32_e32 v119, v188, v119                             // 000000009EA4: 0AEEEFBC
	v_mul_f32_e32 v120, v188, v120                             // 000000009EA8: 0AF0F1BC
	v_mul_f32_e32 v121, v188, v121                             // 000000009EAC: 0AF2F3BC
	v_mul_f32_e32 v122, v188, v122                             // 000000009EB0: 0AF4F5BC
	v_mul_f32_e32 v123, v188, v123                             // 000000009EB4: 0AF6F7BC
	v_mul_f32_e32 v124, v188, v124                             // 000000009EB8: 0AF8F9BC
	v_mul_f32_e32 v125, v188, v125                             // 000000009EBC: 0AFAFBBC
	v_mul_f32_e32 v126, v188, v126                             // 000000009EC0: 0AFCFDBC
	v_mul_f32_e32 v127, v188, v127                             // 000000009EC4: 0AFEFFBC
	v_mul_f32_e32 v128, v188, v128                             // 000000009EC8: 0B0101BC
	v_mul_f32_e32 v129, v188, v129                             // 000000009ECC: 0B0303BC
	v_mul_f32_e32 v130, v188, v130                             // 000000009ED0: 0B0505BC
	v_mul_f32_e32 v131, v188, v131                             // 000000009ED4: 0B0707BC
	v_mul_f32_e32 v132, v188, v132                             // 000000009ED8: 0B0909BC
	v_mul_f32_e32 v133, v188, v133                             // 000000009EDC: 0B0B0BBC
	v_mul_f32_e32 v134, v188, v134                             // 000000009EE0: 0B0D0DBC
	v_mul_f32_e32 v135, v188, v135                             // 000000009EE4: 0B0F0FBC
	v_mul_f32_e32 v136, v188, v136                             // 000000009EE8: 0B1111BC
	v_mul_f32_e32 v137, v188, v137                             // 000000009EEC: 0B1313BC
	v_mul_f32_e32 v138, v188, v138                             // 000000009EF0: 0B1515BC
	v_mul_f32_e32 v139, v188, v139                             // 000000009EF4: 0B1717BC
	v_mul_f32_e32 v140, v188, v140                             // 000000009EF8: 0B1919BC
	s_waitcnt vmcnt(0)                                         // 000000009EFC: BF8C0F70
	s_barrier                                                  // 000000009F00: BF8A0000
	v_mul_f32_e32 v141, v188, v141                             // 000000009F04: 0B1B1BBC
	v_mul_f32_e32 v142, v188, v142                             // 000000009F08: 0B1D1DBC
	v_mul_f32_e32 v143, v188, v143                             // 000000009F0C: 0B1F1FBC
	v_mul_f32_e32 v144, v188, v144                             // 000000009F10: 0B2121BC
	v_mul_f32_e32 v145, v188, v145                             // 000000009F14: 0B2323BC
	v_mul_f32_e32 v146, v188, v146                             // 000000009F18: 0B2525BC
	v_mul_f32_e32 v147, v188, v147                             // 000000009F1C: 0B2727BC
	v_mul_f32_e32 v148, v188, v148                             // 000000009F20: 0B2929BC
	v_mul_f32_e32 v149, v188, v149                             // 000000009F24: 0B2B2BBC
	v_mul_f32_e32 v150, v188, v150                             // 000000009F28: 0B2D2DBC
	v_mul_f32_e32 v151, v188, v151                             // 000000009F2C: 0B2F2FBC
	v_mul_f32_e32 v152, v188, v152                             // 000000009F30: 0B3131BC
	v_mul_f32_e32 v153, v188, v153                             // 000000009F34: 0B3333BC
	v_mul_f32_e32 v154, v188, v154                             // 000000009F38: 0B3535BC
	v_mul_f32_e32 v155, v188, v155                             // 000000009F3C: 0B3737BC
	v_mul_f32_e32 v156, v188, v156                             // 000000009F40: 0B3939BC
	v_mul_f32_e32 v157, v188, v157                             // 000000009F44: 0B3B3BBC
	v_mul_f32_e32 v158, v188, v158                             // 000000009F48: 0B3D3DBC
	v_mul_f32_e32 v159, v188, v159                             // 000000009F4C: 0B3F3FBC
	v_mul_f32_e32 v160, v188, v160                             // 000000009F50: 0B4141BC
	v_mul_f32_e32 v161, v188, v161                             // 000000009F54: 0B4343BC
	v_mul_f32_e32 v162, v188, v162                             // 000000009F58: 0B4545BC
	v_mul_f32_e32 v163, v188, v163                             // 000000009F5C: 0B4747BC
	v_mul_f32_e32 v164, v188, v164                             // 000000009F60: 0B4949BC
	v_mul_f32_e32 v165, v188, v165                             // 000000009F64: 0B4B4BBC
	v_mul_f32_e32 v166, v188, v166                             // 000000009F68: 0B4D4DBC
	v_mul_f32_e32 v167, v188, v167                             // 000000009F6C: 0B4F4FBC
	v_mul_f32_e32 v168, v188, v168                             // 000000009F70: 0B5151BC
	v_mul_f32_e32 v169, v188, v169                             // 000000009F74: 0B5353BC
	v_mul_f32_e32 v170, v188, v170                             // 000000009F78: 0B5555BC
	v_mul_f32_e32 v171, v188, v171                             // 000000009F7C: 0B5757BC
	v_mul_f32_e32 v172, v188, v172                             // 000000009F80: 0B5959BC
	v_mul_f32_e32 v173, v188, v173                             // 000000009F84: 0B5B5BBC
	v_mul_f32_e32 v174, v188, v174                             // 000000009F88: 0B5D5DBC
	v_mul_f32_e32 v175, v188, v175                             // 000000009F8C: 0B5F5FBC
	v_mul_f32_e32 v176, v188, v176                             // 000000009F90: 0B6161BC
	v_mul_f32_e32 v177, v188, v177                             // 000000009F94: 0B6363BC
	v_mul_f32_e32 v178, v188, v178                             // 000000009F98: 0B6565BC
	v_mul_f32_e32 v179, v188, v179                             // 000000009F9C: 0B6767BC
	s_barrier                                                  // 000000009FA0: BF8A0000
	v_cvt_pk_fp8_f32 v52, v52, v53                             // 000000009FA4: D2A20034 00026B34
	v_cvt_pk_fp8_f32 v52, v54, v55 op_sel:[0,0,1]              // 000000009FAC: D2A24034 00026F36
	v_cvt_pk_fp8_f32 v53, v56, v57                             // 000000009FB4: D2A20035 00027338
	v_cvt_pk_fp8_f32 v53, v58, v59 op_sel:[0,0,1]              // 000000009FBC: D2A24035 0002773A
	v_cvt_pk_fp8_f32 v54, v60, v61                             // 000000009FC4: D2A20036 00027B3C
	v_cvt_pk_fp8_f32 v54, v62, v63 op_sel:[0,0,1]              // 000000009FCC: D2A24036 00027F3E
	v_cvt_pk_fp8_f32 v55, v64, v65                             // 000000009FD4: D2A20037 00028340
	v_cvt_pk_fp8_f32 v55, v66, v67 op_sel:[0,0,1]              // 000000009FDC: D2A24037 00028742
	v_cvt_pk_fp8_f32 v56, v68, v69                             // 000000009FE4: D2A20038 00028B44
	v_cvt_pk_fp8_f32 v56, v70, v71 op_sel:[0,0,1]              // 000000009FEC: D2A24038 00028F46
	v_cvt_pk_fp8_f32 v57, v72, v73                             // 000000009FF4: D2A20039 00029348
	v_cvt_pk_fp8_f32 v57, v74, v75 op_sel:[0,0,1]              // 000000009FFC: D2A24039 0002974A
	v_cvt_pk_fp8_f32 v58, v76, v77                             // 00000000A004: D2A2003A 00029B4C
	v_cvt_pk_fp8_f32 v58, v78, v79 op_sel:[0,0,1]              // 00000000A00C: D2A2403A 00029F4E
	v_cvt_pk_fp8_f32 v59, v80, v81                             // 00000000A014: D2A2003B 0002A350
	v_cvt_pk_fp8_f32 v59, v82, v83 op_sel:[0,0,1]              // 00000000A01C: D2A2403B 0002A752
	v_cvt_pk_fp8_f32 v60, v84, v85                             // 00000000A024: D2A2003C 0002AB54
	v_cvt_pk_fp8_f32 v60, v86, v87 op_sel:[0,0,1]              // 00000000A02C: D2A2403C 0002AF56
	v_cvt_pk_fp8_f32 v61, v88, v89                             // 00000000A034: D2A2003D 0002B358
	v_cvt_pk_fp8_f32 v61, v90, v91 op_sel:[0,0,1]              // 00000000A03C: D2A2403D 0002B75A
	v_cvt_pk_fp8_f32 v62, v92, v93                             // 00000000A044: D2A2003E 0002BB5C
	v_cvt_pk_fp8_f32 v62, v94, v95 op_sel:[0,0,1]              // 00000000A04C: D2A2403E 0002BF5E
	v_cvt_pk_fp8_f32 v63, v96, v97                             // 00000000A054: D2A2003F 0002C360
	v_cvt_pk_fp8_f32 v63, v98, v99 op_sel:[0,0,1]              // 00000000A05C: D2A2403F 0002C762
	v_cvt_pk_fp8_f32 v64, v100, v101                           // 00000000A064: D2A20040 0002CB64
	v_cvt_pk_fp8_f32 v64, v102, v103 op_sel:[0,0,1]            // 00000000A06C: D2A24040 0002CF66
	v_cvt_pk_fp8_f32 v65, v104, v105                           // 00000000A074: D2A20041 0002D368
	v_cvt_pk_fp8_f32 v65, v106, v107 op_sel:[0,0,1]            // 00000000A07C: D2A24041 0002D76A
	v_cvt_pk_fp8_f32 v66, v108, v109                           // 00000000A084: D2A20042 0002DB6C
	v_cvt_pk_fp8_f32 v66, v110, v111 op_sel:[0,0,1]            // 00000000A08C: D2A24042 0002DF6E
	v_cvt_pk_fp8_f32 v67, v112, v113                           // 00000000A094: D2A20043 0002E370
	v_cvt_pk_fp8_f32 v67, v114, v115 op_sel:[0,0,1]            // 00000000A09C: D2A24043 0002E772
	s_barrier                                                  // 00000000A0A4: BF8A0000
	s_waitcnt lgkmcnt(8)                                       // 00000000A0A8: BF8CC87F
	s_setprio 1                                                // 00000000A0AC: BF8F0001
	s_barrier                                                  // 00000000A0B0: BF8A0000
	v_mfma_f32_32x32x64_f8f6f4 v[116:131], v[20:27], v[52:59], v[116:131]// 00000000A0B4: D3AE0074 05D26914
	ds_read_b64_tr_b8 v[36:37], v219 offset:16672              // 00000000A0BC: D9C44120 240000DB
	ds_read_b64_tr_b8 v[38:39], v219 offset:16928              // 00000000A0C4: D9C44220 260000DB
	ds_read_b64_tr_b8 v[40:41], v219 offset:17184              // 00000000A0CC: D9C44320 280000DB
	ds_read_b64_tr_b8 v[42:43], v219 offset:17440              // 00000000A0D4: D9C44420 2A0000DB
	s_waitcnt lgkmcnt(8)                                       // 00000000A0DC: BF8CC87F
	v_mfma_f32_32x32x64_f8f6f4 v[116:131], v[28:35], v[60:67], v[116:131]// 00000000A0E0: D3AE0074 05D2791C
	ds_read_b64_tr_b8 v[44:45], v219 offset:24992              // 00000000A0E8: D9C461A0 2C0000DB
	ds_read_b64_tr_b8 v[46:47], v219 offset:25248              // 00000000A0F0: D9C462A0 2E0000DB
	ds_read_b64_tr_b8 v[48:49], v219 offset:25504              // 00000000A0F8: D9C463A0 300000DB
	ds_read_b64_tr_b8 v[50:51], v219 offset:25760              // 00000000A100: D9C464A0 320000DB
	s_waitcnt lgkmcnt(8)                                       // 00000000A108: BF8CC87F
	v_mfma_f32_32x32x64_f8f6f4 v[132:147], v[36:43], v[52:59], v[132:147]// 00000000A10C: D3AE0084 06126924
	ds_read_b64_tr_b8 v[20:21], v219 offset:16704              // 00000000A114: D9C44140 140000DB
	ds_read_b64_tr_b8 v[22:23], v219 offset:16960              // 00000000A11C: D9C44240 160000DB
	ds_read_b64_tr_b8 v[24:25], v219 offset:17216              // 00000000A124: D9C44340 180000DB
	ds_read_b64_tr_b8 v[26:27], v219 offset:17472              // 00000000A12C: D9C44440 1A0000DB
	s_waitcnt lgkmcnt(8)                                       // 00000000A134: BF8CC87F
	v_mfma_f32_32x32x64_f8f6f4 v[132:147], v[44:51], v[60:67], v[132:147]// 00000000A138: D3AE0084 0612792C
	ds_read_b64_tr_b8 v[28:29], v219 offset:25024              // 00000000A140: D9C461C0 1C0000DB
	ds_read_b64_tr_b8 v[30:31], v219 offset:25280              // 00000000A148: D9C462C0 1E0000DB
	ds_read_b64_tr_b8 v[32:33], v219 offset:25536              // 00000000A150: D9C463C0 200000DB
	ds_read_b64_tr_b8 v[34:35], v219 offset:25792              // 00000000A158: D9C464C0 220000DB
	s_waitcnt lgkmcnt(8)                                       // 00000000A160: BF8CC87F
	v_mfma_f32_32x32x64_f8f6f4 v[148:163], v[20:27], v[52:59], v[148:163]// 00000000A164: D3AE0094 06526914
	ds_read_b64_tr_b8 v[36:37], v219 offset:16736              // 00000000A16C: D9C44160 240000DB
	ds_read_b64_tr_b8 v[38:39], v219 offset:16992              // 00000000A174: D9C44260 260000DB
	ds_read_b64_tr_b8 v[40:41], v219 offset:17248              // 00000000A17C: D9C44360 280000DB
	ds_read_b64_tr_b8 v[42:43], v219 offset:17504              // 00000000A184: D9C44460 2A0000DB
	s_waitcnt lgkmcnt(8)                                       // 00000000A18C: BF8CC87F
	v_mfma_f32_32x32x64_f8f6f4 v[148:163], v[28:35], v[60:67], v[148:163]// 00000000A190: D3AE0094 0652791C
	ds_read_b64_tr_b8 v[44:45], v219 offset:25056              // 00000000A198: D9C461E0 2C0000DB
	ds_read_b64_tr_b8 v[46:47], v219 offset:25312              // 00000000A1A0: D9C462E0 2E0000DB
	ds_read_b64_tr_b8 v[48:49], v219 offset:25568              // 00000000A1A8: D9C463E0 300000DB
	ds_read_b64_tr_b8 v[50:51], v219 offset:25824              // 00000000A1B0: D9C464E0 320000DB
	s_waitcnt lgkmcnt(8)                                       // 00000000A1B8: BF8CC87F
	v_mfma_f32_32x32x64_f8f6f4 v[164:179], v[36:43], v[52:59], v[164:179]// 00000000A1BC: D3AE00A4 06926924
	ds_read_b128 v[20:23], v218                                // 00000000A1C4: D9FE0000 140000DA
	ds_read_b128 v[24:27], v218 offset:32                      // 00000000A1CC: D9FE0020 180000DA
	s_waitcnt lgkmcnt(6)                                       // 00000000A1D4: BF8CC67F
	v_mfma_f32_32x32x64_f8f6f4 v[164:179], v[44:51], v[60:67], v[164:179]// 00000000A1D8: D3AE00A4 0692792C
	ds_read_b128 v[28:31], v218 offset:4160                    // 00000000A1E0: D9FE1040 1C0000DA
	ds_read_b128 v[32:35], v218 offset:4192                    // 00000000A1E8: D9FE1060 200000DA
	s_addk_i32 s68, 0x80                                       // 00000000A1F0: B7440080
	s_branch label_4A44                                        // 00000000A1F4: BF82F913

000000000000a1f8 <label_65F8>:
	s_barrier                                                  // 00000000A1F8: BF8A0000
	s_barrier                                                  // 00000000A1FC: BF8A0000
	s_barrier                                                  // 00000000A200: BF8A0000
	s_barrier                                                  // 00000000A204: BF8A0000

000000000000a208 <label_6608>:
	v_mov_b32_e32 v184, v190                                   // 00000000A208: 7F7003BE
	s_nop 1                                                    // 00000000A20C: BF800001
	v_permlane32_swap_b32_e32 v184, v190                       // 00000000A210: 7F70B5BE
	v_add_f32_e32 v190, v190, v184                             // 00000000A214: 037D71BE
	v_rcp_f32_e32 v186, v190                                   // 00000000A218: 7F7445BE
	v_cmp_eq_u32_e64 s[66:67], 0, v190                         // 00000000A21C: D0CA0042 00037C80
	s_nop 0                                                    // 00000000A224: BF800000
	v_cndmask_b32_e64 v186, v186, 0, s[66:67]                  // 00000000A228: D10000BA 010901BA
	v_mul_f32_e32 v186, s35, v186                              // 00000000A230: 0B757423
	v_mov_b32_e32 v187, v186                                   // 00000000A234: 7F7603BA
	v_pk_mul_f32 v[116:117], v[116:117], v[186:187]            // 00000000A238: D3B14074 18037574
	v_pk_mul_f32 v[118:119], v[118:119], v[186:187]            // 00000000A240: D3B14076 18037576
	v_pk_mul_f32 v[120:121], v[120:121], v[186:187]            // 00000000A248: D3B14078 18037578
	v_pk_mul_f32 v[122:123], v[122:123], v[186:187]            // 00000000A250: D3B1407A 1803757A
	v_pk_mul_f32 v[124:125], v[124:125], v[186:187]            // 00000000A258: D3B1407C 1803757C
	v_pk_mul_f32 v[126:127], v[126:127], v[186:187]            // 00000000A260: D3B1407E 1803757E
	v_pk_mul_f32 v[128:129], v[128:129], v[186:187]            // 00000000A268: D3B14080 18037580
	v_pk_mul_f32 v[130:131], v[130:131], v[186:187]            // 00000000A270: D3B14082 18037582
	v_pk_mul_f32 v[132:133], v[132:133], v[186:187]            // 00000000A278: D3B14084 18037584
	v_pk_mul_f32 v[134:135], v[134:135], v[186:187]            // 00000000A280: D3B14086 18037586
	v_pk_mul_f32 v[136:137], v[136:137], v[186:187]            // 00000000A288: D3B14088 18037588
	v_pk_mul_f32 v[138:139], v[138:139], v[186:187]            // 00000000A290: D3B1408A 1803758A
	v_pk_mul_f32 v[140:141], v[140:141], v[186:187]            // 00000000A298: D3B1408C 1803758C
	v_pk_mul_f32 v[142:143], v[142:143], v[186:187]            // 00000000A2A0: D3B1408E 1803758E
	v_pk_mul_f32 v[144:145], v[144:145], v[186:187]            // 00000000A2A8: D3B14090 18037590
	v_pk_mul_f32 v[146:147], v[146:147], v[186:187]            // 00000000A2B0: D3B14092 18037592
	v_pk_mul_f32 v[148:149], v[148:149], v[186:187]            // 00000000A2B8: D3B14094 18037594
	v_pk_mul_f32 v[150:151], v[150:151], v[186:187]            // 00000000A2C0: D3B14096 18037596
	v_pk_mul_f32 v[152:153], v[152:153], v[186:187]            // 00000000A2C8: D3B14098 18037598
	v_pk_mul_f32 v[154:155], v[154:155], v[186:187]            // 00000000A2D0: D3B1409A 1803759A
	v_pk_mul_f32 v[156:157], v[156:157], v[186:187]            // 00000000A2D8: D3B1409C 1803759C
	v_pk_mul_f32 v[158:159], v[158:159], v[186:187]            // 00000000A2E0: D3B1409E 1803759E
	v_pk_mul_f32 v[160:161], v[160:161], v[186:187]            // 00000000A2E8: D3B140A0 180375A0
	v_pk_mul_f32 v[162:163], v[162:163], v[186:187]            // 00000000A2F0: D3B140A2 180375A2
	v_pk_mul_f32 v[164:165], v[164:165], v[186:187]            // 00000000A2F8: D3B140A4 180375A4
	v_pk_mul_f32 v[166:167], v[166:167], v[186:187]            // 00000000A300: D3B140A6 180375A6
	v_pk_mul_f32 v[168:169], v[168:169], v[186:187]            // 00000000A308: D3B140A8 180375A8
	v_pk_mul_f32 v[170:171], v[170:171], v[186:187]            // 00000000A310: D3B140AA 180375AA
	v_pk_mul_f32 v[172:173], v[172:173], v[186:187]            // 00000000A318: D3B140AC 180375AC
	v_pk_mul_f32 v[174:175], v[174:175], v[186:187]            // 00000000A320: D3B140AE 180375AE
	v_pk_mul_f32 v[176:177], v[176:177], v[186:187]            // 00000000A328: D3B140B0 180375B0
	v_pk_mul_f32 v[178:179], v[178:179], v[186:187]            // 00000000A330: D3B140B2 180375B2
	v_cvt_pk_bf16_f32 v116, v116, v117                         // 00000000A338: D2680074 0002EB74
	v_cvt_pk_bf16_f32 v117, v118, v119                         // 00000000A340: D2680075 0002EF76
	v_cvt_pk_bf16_f32 v118, v120, v121                         // 00000000A348: D2680076 0002F378
	v_cvt_pk_bf16_f32 v119, v122, v123                         // 00000000A350: D2680077 0002F77A
	v_cvt_pk_bf16_f32 v120, v124, v125                         // 00000000A358: D2680078 0002FB7C
	v_cvt_pk_bf16_f32 v121, v126, v127                         // 00000000A360: D2680079 0002FF7E
	v_cvt_pk_bf16_f32 v122, v128, v129                         // 00000000A368: D268007A 00030380
	v_cvt_pk_bf16_f32 v123, v130, v131                         // 00000000A370: D268007B 00030782
	v_permlane32_swap_b32_e32 v116, v118                       // 00000000A378: 7EE8B576
	v_permlane32_swap_b32_e32 v117, v119                       // 00000000A37C: 7EEAB577
	v_permlane32_swap_b32_e32 v120, v122                       // 00000000A380: 7EF0B57A
	v_permlane32_swap_b32_e32 v121, v123                       // 00000000A384: 7EF2B57B
	v_add_u32_e32 v184, 0, v221                                // 00000000A388: 6971BA80
	buffer_store_dwordx4 v[116:119], v184, s[4:7], 0 offen     // 00000000A38C: E07C1000 800174B8
	v_add_u32_e32 v184, 32, v221                               // 00000000A394: 6971BAA0
	buffer_store_dwordx4 v[120:123], v184, s[4:7], 0 offen     // 00000000A398: E07C1000 800178B8
	v_cvt_pk_bf16_f32 v124, v132, v133                         // 00000000A3A0: D268007C 00030B84
	v_cvt_pk_bf16_f32 v125, v134, v135                         // 00000000A3A8: D268007D 00030F86
	v_cvt_pk_bf16_f32 v126, v136, v137                         // 00000000A3B0: D268007E 00031388
	v_cvt_pk_bf16_f32 v127, v138, v139                         // 00000000A3B8: D268007F 0003178A
	v_cvt_pk_bf16_f32 v128, v140, v141                         // 00000000A3C0: D2680080 00031B8C
	v_cvt_pk_bf16_f32 v129, v142, v143                         // 00000000A3C8: D2680081 00031F8E
	v_cvt_pk_bf16_f32 v130, v144, v145                         // 00000000A3D0: D2680082 00032390
	v_cvt_pk_bf16_f32 v131, v146, v147                         // 00000000A3D8: D2680083 00032792
	v_permlane32_swap_b32_e32 v124, v126                       // 00000000A3E0: 7EF8B57E
	v_permlane32_swap_b32_e32 v125, v127                       // 00000000A3E4: 7EFAB57F
	v_permlane32_swap_b32_e32 v128, v130                       // 00000000A3E8: 7F00B582
	v_permlane32_swap_b32_e32 v129, v131                       // 00000000A3EC: 7F02B583
	v_add_u32_e32 v184, 64, v221                               // 00000000A3F0: 6971BAC0
	buffer_store_dwordx4 v[124:127], v184, s[4:7], 0 offen     // 00000000A3F4: E07C1000 80017CB8
	v_add_u32_e32 v184, 0x60, v221                             // 00000000A3FC: 6971BAFF 00000060
	buffer_store_dwordx4 v[128:131], v184, s[4:7], 0 offen     // 00000000A404: E07C1000 800180B8
	v_cvt_pk_bf16_f32 v132, v148, v149                         // 00000000A40C: D2680084 00032B94
	v_cvt_pk_bf16_f32 v133, v150, v151                         // 00000000A414: D2680085 00032F96
	v_cvt_pk_bf16_f32 v134, v152, v153                         // 00000000A41C: D2680086 00033398
	v_cvt_pk_bf16_f32 v135, v154, v155                         // 00000000A424: D2680087 0003379A
	v_cvt_pk_bf16_f32 v136, v156, v157                         // 00000000A42C: D2680088 00033B9C
	v_cvt_pk_bf16_f32 v137, v158, v159                         // 00000000A434: D2680089 00033F9E
	v_cvt_pk_bf16_f32 v138, v160, v161                         // 00000000A43C: D268008A 000343A0
	v_cvt_pk_bf16_f32 v139, v162, v163                         // 00000000A444: D268008B 000347A2
	v_permlane32_swap_b32_e32 v132, v134                       // 00000000A44C: 7F08B586
	v_permlane32_swap_b32_e32 v133, v135                       // 00000000A450: 7F0AB587
	v_permlane32_swap_b32_e32 v136, v138                       // 00000000A454: 7F10B58A
	v_permlane32_swap_b32_e32 v137, v139                       // 00000000A458: 7F12B58B
	v_add_u32_e32 v184, 0x80, v221                             // 00000000A45C: 6971BAFF 00000080
	buffer_store_dwordx4 v[132:135], v184, s[4:7], 0 offen     // 00000000A464: E07C1000 800184B8
	v_add_u32_e32 v184, 0xa0, v221                             // 00000000A46C: 6971BAFF 000000A0
	buffer_store_dwordx4 v[136:139], v184, s[4:7], 0 offen     // 00000000A474: E07C1000 800188B8
	v_cvt_pk_bf16_f32 v140, v164, v165                         // 00000000A47C: D268008C 00034BA4
	v_cvt_pk_bf16_f32 v141, v166, v167                         // 00000000A484: D268008D 00034FA6
	v_cvt_pk_bf16_f32 v142, v168, v169                         // 00000000A48C: D268008E 000353A8
	v_cvt_pk_bf16_f32 v143, v170, v171                         // 00000000A494: D268008F 000357AA
	v_cvt_pk_bf16_f32 v144, v172, v173                         // 00000000A49C: D2680090 00035BAC
	v_cvt_pk_bf16_f32 v145, v174, v175                         // 00000000A4A4: D2680091 00035FAE
	v_cvt_pk_bf16_f32 v146, v176, v177                         // 00000000A4AC: D2680092 000363B0
	v_cvt_pk_bf16_f32 v147, v178, v179                         // 00000000A4B4: D2680093 000367B2
	v_permlane32_swap_b32_e32 v140, v142                       // 00000000A4BC: 7F18B58E
	v_permlane32_swap_b32_e32 v141, v143                       // 00000000A4C0: 7F1AB58F
	v_permlane32_swap_b32_e32 v144, v146                       // 00000000A4C4: 7F20B592
	v_permlane32_swap_b32_e32 v145, v147                       // 00000000A4C8: 7F22B593
	v_add_u32_e32 v184, 0xc0, v221                             // 00000000A4CC: 6971BAFF 000000C0
	buffer_store_dwordx4 v[140:143], v184, s[4:7], 0 offen     // 00000000A4D4: E07C1000 80018CB8
	v_add_u32_e32 v184, 0xe0, v221                             // 00000000A4DC: 6971BAFF 000000E0
	buffer_store_dwordx4 v[144:147], v184, s[4:7], 0 offen     // 00000000A4E4: E07C1000 800190B8
	s_cmp_lg_u32 s57, s63                                      // 00000000A4EC: BF073F39
	s_cbranch_scc1 label_690C                                  // 00000000A4F0: BF850006
	s_sub_u32 s57, s56, s63                                    // 00000000A4F4: 80B93F38
	s_cmp_le_u32 s57, s63                                      // 00000000A4F8: BF0B3F39
	s_cbranch_scc1 label_690C                                  // 00000000A4FC: BF850003
	s_waitcnt vmcnt(0) expcnt(0) lgkmcnt(0)                    // 00000000A500: BF8C0000
	s_barrier                                                  // 00000000A504: BF8A0000
	s_branch label_05D4                                        // 00000000A508: BF82E732

000000000000a50c <label_690C>:
	s_waitcnt vmcnt(0) expcnt(0) lgkmcnt(0)                    // 00000000A50C: BF8C0000
	s_endpgm                                                   // 00000000A510: BF810000
